;; amdgpu-corpus repo=ROCm/aiter kind=harvested arch=n/a opt=n/a

/root/src/amdgpu-assembly/repos/ROCm__aiter/hsa/gfx942/topk_per_row_prefill/asm_top_k_per_row_prefill.co:	file format elf64-amdgpu

Disassembly of section .text:

0000000000001800 <.text>:
	s_nop 0                                                    // 000000001800: BF800000
	s_nop 0                                                    // 000000001804: BF800000
	;; [unrolled: 1-line block ×3, first 2 shown]
	s_nop 0                                                    // 00000000180C: BF800000
	s_nop 0                                                    // 000000001810: BF800000
	s_nop 0                                                    // 000000001814: BF800000
	;; [unrolled: 1-line block ×3, first 2 shown]
	s_nop 0                                                    // 00000000181C: BF800000
	s_nop 0                                                    // 000000001820: BF800000
	s_nop 0                                                    // 000000001824: BF800000
	;; [unrolled: 1-line block ×3, first 2 shown]
	s_nop 0                                                    // 00000000182C: BF800000
	s_nop 0                                                    // 000000001830: BF800000
	s_nop 0                                                    // 000000001834: BF800000
	;; [unrolled: 1-line block ×3, first 2 shown]
	s_nop 0                                                    // 00000000183C: BF800000
	s_nop 0                                                    // 000000001840: BF800000
	s_nop 0                                                    // 000000001844: BF800000
	;; [unrolled: 1-line block ×3, first 2 shown]
	s_nop 0                                                    // 00000000184C: BF800000
	s_nop 0                                                    // 000000001850: BF800000
	s_nop 0                                                    // 000000001854: BF800000
	s_nop 0                                                    // 000000001858: BF800000
	s_nop 0                                                    // 00000000185C: BF800000
	s_nop 0                                                    // 000000001860: BF800000
	s_nop 0                                                    // 000000001864: BF800000
	;; [unrolled: 1-line block ×3, first 2 shown]
	s_nop 0                                                    // 00000000186C: BF800000
	s_nop 0                                                    // 000000001870: BF800000
	s_nop 0                                                    // 000000001874: BF800000
	;; [unrolled: 1-line block ×3, first 2 shown]
	s_nop 0                                                    // 00000000187C: BF800000
	s_nop 0                                                    // 000000001880: BF800000
	s_nop 0                                                    // 000000001884: BF800000
	;; [unrolled: 1-line block ×3, first 2 shown]
	s_nop 0                                                    // 00000000188C: BF800000
	s_nop 0                                                    // 000000001890: BF800000
	s_nop 0                                                    // 000000001894: BF800000
	;; [unrolled: 1-line block ×3, first 2 shown]
	s_nop 0                                                    // 00000000189C: BF800000
	s_nop 0                                                    // 0000000018A0: BF800000
	s_nop 0                                                    // 0000000018A4: BF800000
	s_nop 0                                                    // 0000000018A8: BF800000
	s_nop 0                                                    // 0000000018AC: BF800000
	s_nop 0                                                    // 0000000018B0: BF800000
	s_nop 0                                                    // 0000000018B4: BF800000
	s_nop 0                                                    // 0000000018B8: BF800000
	s_nop 0                                                    // 0000000018BC: BF800000
	s_nop 0                                                    // 0000000018C0: BF800000
	s_nop 0                                                    // 0000000018C4: BF800000
	s_nop 0                                                    // 0000000018C8: BF800000
	s_nop 0                                                    // 0000000018CC: BF800000
	s_nop 0                                                    // 0000000018D0: BF800000
	s_nop 0                                                    // 0000000018D4: BF800000
	s_nop 0                                                    // 0000000018D8: BF800000
	s_nop 0                                                    // 0000000018DC: BF800000
	s_nop 0                                                    // 0000000018E0: BF800000
	s_nop 0                                                    // 0000000018E4: BF800000
	s_nop 0                                                    // 0000000018E8: BF800000
	s_nop 0                                                    // 0000000018EC: BF800000
	s_nop 0                                                    // 0000000018F0: BF800000
	s_nop 0                                                    // 0000000018F4: BF800000
	s_nop 0                                                    // 0000000018F8: BF800000
	s_nop 0                                                    // 0000000018FC: BF800000
	s_nop 0                                                    // 000000001900: BF800000
	s_nop 0                                                    // 000000001904: BF800000
	;; [unrolled: 1-line block ×3, first 2 shown]
	s_nop 0                                                    // 00000000190C: BF800000
	s_nop 0                                                    // 000000001910: BF800000
	s_nop 0                                                    // 000000001914: BF800000
	;; [unrolled: 1-line block ×3, first 2 shown]
	s_nop 0                                                    // 00000000191C: BF800000
	s_nop 0                                                    // 000000001920: BF800000
	s_nop 0                                                    // 000000001924: BF800000
	;; [unrolled: 1-line block ×3, first 2 shown]
	s_nop 0                                                    // 00000000192C: BF800000
	s_nop 0                                                    // 000000001930: BF800000
	s_nop 0                                                    // 000000001934: BF800000
	;; [unrolled: 1-line block ×3, first 2 shown]
	s_nop 0                                                    // 00000000193C: BF800000
	s_nop 0                                                    // 000000001940: BF800000
	s_nop 0                                                    // 000000001944: BF800000
	;; [unrolled: 1-line block ×3, first 2 shown]
	s_nop 0                                                    // 00000000194C: BF800000
	s_nop 0                                                    // 000000001950: BF800000
	s_nop 0                                                    // 000000001954: BF800000
	;; [unrolled: 1-line block ×3, first 2 shown]
	s_nop 0                                                    // 00000000195C: BF800000
	s_nop 0                                                    // 000000001960: BF800000
	s_nop 0                                                    // 000000001964: BF800000
	;; [unrolled: 1-line block ×3, first 2 shown]
	s_nop 0                                                    // 00000000196C: BF800000
	s_nop 0                                                    // 000000001970: BF800000
	s_nop 0                                                    // 000000001974: BF800000
	s_nop 0                                                    // 000000001978: BF800000
	s_nop 0                                                    // 00000000197C: BF800000
	s_nop 0                                                    // 000000001980: BF800000
	s_nop 0                                                    // 000000001984: BF800000
	;; [unrolled: 1-line block ×3, first 2 shown]
	s_nop 0                                                    // 00000000198C: BF800000
	s_nop 0                                                    // 000000001990: BF800000
	s_nop 0                                                    // 000000001994: BF800000
	;; [unrolled: 1-line block ×3, first 2 shown]
	s_nop 0                                                    // 00000000199C: BF800000
	s_nop 0                                                    // 0000000019A0: BF800000
	s_nop 0                                                    // 0000000019A4: BF800000
	s_nop 0                                                    // 0000000019A8: BF800000
	s_nop 0                                                    // 0000000019AC: BF800000
	s_nop 0                                                    // 0000000019B0: BF800000
	s_nop 0                                                    // 0000000019B4: BF800000
	s_nop 0                                                    // 0000000019B8: BF800000
	s_nop 0                                                    // 0000000019BC: BF800000
	s_nop 0                                                    // 0000000019C0: BF800000
	s_nop 0                                                    // 0000000019C4: BF800000
	s_nop 0                                                    // 0000000019C8: BF800000
	s_nop 0                                                    // 0000000019CC: BF800000
	s_nop 0                                                    // 0000000019D0: BF800000
	s_nop 0                                                    // 0000000019D4: BF800000
	s_nop 0                                                    // 0000000019D8: BF800000
	s_nop 0                                                    // 0000000019DC: BF800000
	s_nop 0                                                    // 0000000019E0: BF800000
	s_nop 0                                                    // 0000000019E4: BF800000
	s_nop 0                                                    // 0000000019E8: BF800000
	s_nop 0                                                    // 0000000019EC: BF800000
	s_nop 0                                                    // 0000000019F0: BF800000
	s_nop 0                                                    // 0000000019F4: BF800000
	s_nop 0                                                    // 0000000019F8: BF800000
	s_nop 0                                                    // 0000000019FC: BF800000
	s_nop 0                                                    // 000000001A00: BF800000
	s_nop 0                                                    // 000000001A04: BF800000
	s_nop 0                                                    // 000000001A08: BF800000
	s_nop 0                                                    // 000000001A0C: BF800000
	s_nop 0                                                    // 000000001A10: BF800000
	s_nop 0                                                    // 000000001A14: BF800000
	s_nop 0                                                    // 000000001A18: BF800000
	s_nop 0                                                    // 000000001A1C: BF800000
	s_nop 0                                                    // 000000001A20: BF800000
	s_nop 0                                                    // 000000001A24: BF800000
	s_nop 0                                                    // 000000001A28: BF800000
	s_nop 0                                                    // 000000001A2C: BF800000
	s_nop 0                                                    // 000000001A30: BF800000
	s_nop 0                                                    // 000000001A34: BF800000
	s_nop 0                                                    // 000000001A38: BF800000
	s_nop 0                                                    // 000000001A3C: BF800000
	s_nop 0                                                    // 000000001A40: BF800000
	s_nop 0                                                    // 000000001A44: BF800000
	s_nop 0                                                    // 000000001A48: BF800000
	s_nop 0                                                    // 000000001A4C: BF800000
	s_nop 0                                                    // 000000001A50: BF800000
	s_nop 0                                                    // 000000001A54: BF800000
	s_nop 0                                                    // 000000001A58: BF800000
	s_nop 0                                                    // 000000001A5C: BF800000
	s_nop 0                                                    // 000000001A60: BF800000
	s_nop 0                                                    // 000000001A64: BF800000
	s_nop 0                                                    // 000000001A68: BF800000
	s_nop 0                                                    // 000000001A6C: BF800000
	s_nop 0                                                    // 000000001A70: BF800000
	s_nop 0                                                    // 000000001A74: BF800000
	s_nop 0                                                    // 000000001A78: BF800000
	s_nop 0                                                    // 000000001A7C: BF800000
	s_nop 0                                                    // 000000001A80: BF800000
	s_nop 0                                                    // 000000001A84: BF800000
	s_nop 0                                                    // 000000001A88: BF800000
	s_nop 0                                                    // 000000001A8C: BF800000
	s_nop 0                                                    // 000000001A90: BF800000
	s_nop 0                                                    // 000000001A94: BF800000
	s_nop 0                                                    // 000000001A98: BF800000
	s_nop 0                                                    // 000000001A9C: BF800000
	s_nop 0                                                    // 000000001AA0: BF800000
	s_nop 0                                                    // 000000001AA4: BF800000
	s_nop 0                                                    // 000000001AA8: BF800000
	s_nop 0                                                    // 000000001AAC: BF800000
	s_nop 0                                                    // 000000001AB0: BF800000
	s_nop 0                                                    // 000000001AB4: BF800000
	s_nop 0                                                    // 000000001AB8: BF800000
	s_nop 0                                                    // 000000001ABC: BF800000
	s_nop 0                                                    // 000000001AC0: BF800000
	s_nop 0                                                    // 000000001AC4: BF800000
	s_nop 0                                                    // 000000001AC8: BF800000
	s_nop 0                                                    // 000000001ACC: BF800000
	s_nop 0                                                    // 000000001AD0: BF800000
	s_nop 0                                                    // 000000001AD4: BF800000
	s_nop 0                                                    // 000000001AD8: BF800000
	s_nop 0                                                    // 000000001ADC: BF800000
	s_nop 0                                                    // 000000001AE0: BF800000
	s_nop 0                                                    // 000000001AE4: BF800000
	s_nop 0                                                    // 000000001AE8: BF800000
	s_nop 0                                                    // 000000001AEC: BF800000
	s_nop 0                                                    // 000000001AF0: BF800000
	s_nop 0                                                    // 000000001AF4: BF800000
	s_nop 0                                                    // 000000001AF8: BF800000
	s_nop 0                                                    // 000000001AFC: BF800000
	s_nop 0                                                    // 000000001B00: BF800000
	s_nop 0                                                    // 000000001B04: BF800000
	s_nop 0                                                    // 000000001B08: BF800000
	s_nop 0                                                    // 000000001B0C: BF800000
	s_nop 0                                                    // 000000001B10: BF800000
	s_nop 0                                                    // 000000001B14: BF800000
	s_nop 0                                                    // 000000001B18: BF800000
	s_nop 0                                                    // 000000001B1C: BF800000
	s_nop 0                                                    // 000000001B20: BF800000
	s_nop 0                                                    // 000000001B24: BF800000
	s_nop 0                                                    // 000000001B28: BF800000
	s_nop 0                                                    // 000000001B2C: BF800000
	s_nop 0                                                    // 000000001B30: BF800000
	s_nop 0                                                    // 000000001B34: BF800000
	s_nop 0                                                    // 000000001B38: BF800000
	s_nop 0                                                    // 000000001B3C: BF800000
	s_nop 0                                                    // 000000001B40: BF800000
	s_nop 0                                                    // 000000001B44: BF800000
	s_nop 0                                                    // 000000001B48: BF800000
	s_nop 0                                                    // 000000001B4C: BF800000
	s_nop 0                                                    // 000000001B50: BF800000
	s_nop 0                                                    // 000000001B54: BF800000
	s_nop 0                                                    // 000000001B58: BF800000
	s_nop 0                                                    // 000000001B5C: BF800000
	s_nop 0                                                    // 000000001B60: BF800000
	s_nop 0                                                    // 000000001B64: BF800000
	s_nop 0                                                    // 000000001B68: BF800000
	s_nop 0                                                    // 000000001B6C: BF800000
	s_nop 0                                                    // 000000001B70: BF800000
	s_nop 0                                                    // 000000001B74: BF800000
	s_nop 0                                                    // 000000001B78: BF800000
	s_nop 0                                                    // 000000001B7C: BF800000
	s_nop 0                                                    // 000000001B80: BF800000
	s_nop 0                                                    // 000000001B84: BF800000
	s_nop 0                                                    // 000000001B88: BF800000
	s_nop 0                                                    // 000000001B8C: BF800000
	s_nop 0                                                    // 000000001B90: BF800000
	s_nop 0                                                    // 000000001B94: BF800000
	s_nop 0                                                    // 000000001B98: BF800000
	s_nop 0                                                    // 000000001B9C: BF800000
	s_nop 0                                                    // 000000001BA0: BF800000
	s_nop 0                                                    // 000000001BA4: BF800000
	s_nop 0                                                    // 000000001BA8: BF800000
	s_nop 0                                                    // 000000001BAC: BF800000
	s_nop 0                                                    // 000000001BB0: BF800000
	s_nop 0                                                    // 000000001BB4: BF800000
	s_nop 0                                                    // 000000001BB8: BF800000
	s_nop 0                                                    // 000000001BBC: BF800000
	s_nop 0                                                    // 000000001BC0: BF800000
	s_nop 0                                                    // 000000001BC4: BF800000
	s_nop 0                                                    // 000000001BC8: BF800000
	s_nop 0                                                    // 000000001BCC: BF800000
	s_nop 0                                                    // 000000001BD0: BF800000
	s_nop 0                                                    // 000000001BD4: BF800000
	s_nop 0                                                    // 000000001BD8: BF800000
	s_nop 0                                                    // 000000001BDC: BF800000
	s_nop 0                                                    // 000000001BE0: BF800000
	s_nop 0                                                    // 000000001BE4: BF800000
	s_nop 0                                                    // 000000001BE8: BF800000
	s_nop 0                                                    // 000000001BEC: BF800000
	s_nop 0                                                    // 000000001BF0: BF800000
	s_nop 0                                                    // 000000001BF4: BF800000
	s_nop 0                                                    // 000000001BF8: BF800000
	s_nop 0                                                    // 000000001BFC: BF800000

0000000000001c00 <_ZN5aiter11PrefillTopKL10topKPerRowILi1024ELi2048ELi2048ELi512EEEvPvPKfPKiS6_PiPfii>:
	s_trap 2                                                   // 000000001C00: BF920002
	s_nop 0                                                    // 000000001C04: BF800000
	s_nop 0                                                    // 000000001C08: BF800000
	s_nop 0                                                    // 000000001C0C: BF800000
	s_nop 0                                                    // 000000001C10: BF800000
	s_nop 0                                                    // 000000001C14: BF800000
	s_nop 0                                                    // 000000001C18: BF800000
	s_nop 0                                                    // 000000001C1C: BF800000
	s_nop 0                                                    // 000000001C20: BF800000
	s_nop 0                                                    // 000000001C24: BF800000
	s_nop 0                                                    // 000000001C28: BF800000
	s_nop 0                                                    // 000000001C2C: BF800000
	s_nop 0                                                    // 000000001C30: BF800000
	s_nop 0                                                    // 000000001C34: BF800000
	s_nop 0                                                    // 000000001C38: BF800000
	s_nop 0                                                    // 000000001C3C: BF800000
	s_nop 0                                                    // 000000001C40: BF800000
	s_nop 0                                                    // 000000001C44: BF800000
	s_nop 0                                                    // 000000001C48: BF800000
	s_nop 0                                                    // 000000001C4C: BF800000
	s_nop 0                                                    // 000000001C50: BF800000
	s_nop 0                                                    // 000000001C54: BF800000
	s_nop 0                                                    // 000000001C58: BF800000
	s_nop 0                                                    // 000000001C5C: BF800000
	s_nop 0                                                    // 000000001C60: BF800000
	s_nop 0                                                    // 000000001C64: BF800000
	s_nop 0                                                    // 000000001C68: BF800000
	s_nop 0                                                    // 000000001C6C: BF800000
	s_nop 0                                                    // 000000001C70: BF800000
	s_nop 0                                                    // 000000001C74: BF800000
	s_nop 0                                                    // 000000001C78: BF800000
	s_nop 0                                                    // 000000001C7C: BF800000
	s_nop 0                                                    // 000000001C80: BF800000
	s_nop 0                                                    // 000000001C84: BF800000
	s_nop 0                                                    // 000000001C88: BF800000
	s_nop 0                                                    // 000000001C8C: BF800000
	s_nop 0                                                    // 000000001C90: BF800000
	s_nop 0                                                    // 000000001C94: BF800000
	s_nop 0                                                    // 000000001C98: BF800000
	s_nop 0                                                    // 000000001C9C: BF800000
	s_nop 0                                                    // 000000001CA0: BF800000
	s_nop 0                                                    // 000000001CA4: BF800000
	s_nop 0                                                    // 000000001CA8: BF800000
	s_nop 0                                                    // 000000001CAC: BF800000
	s_nop 0                                                    // 000000001CB0: BF800000
	s_nop 0                                                    // 000000001CB4: BF800000
	s_nop 0                                                    // 000000001CB8: BF800000
	s_nop 0                                                    // 000000001CBC: BF800000
	s_nop 0                                                    // 000000001CC0: BF800000
	s_nop 0                                                    // 000000001CC4: BF800000
	s_nop 0                                                    // 000000001CC8: BF800000
	s_nop 0                                                    // 000000001CCC: BF800000
	s_nop 0                                                    // 000000001CD0: BF800000
	s_nop 0                                                    // 000000001CD4: BF800000
	s_nop 0                                                    // 000000001CD8: BF800000
	s_nop 0                                                    // 000000001CDC: BF800000
	s_nop 0                                                    // 000000001CE0: BF800000
	s_nop 0                                                    // 000000001CE4: BF800000
	s_nop 0                                                    // 000000001CE8: BF800000
	s_nop 0                                                    // 000000001CEC: BF800000
	s_nop 0                                                    // 000000001CF0: BF800000
	s_nop 0                                                    // 000000001CF4: BF800000
	s_nop 0                                                    // 000000001CF8: BF800000
	s_nop 0                                                    // 000000001CFC: BF800000
	s_mov_b32 s20, s15                                         // 000000001D00: BE94000F
	s_lshl_b32 s34, s14, 11                                    // 000000001D04: 8E228B0E
	s_ashr_i32 s15, s14, 31                                    // 000000001D08: 900F9F0E
	s_lshl_b64 s[18:19], s[14:15], 2                           // 000000001D0C: 8E92820E
	s_add_u32 s8, s8, s18                                      // 000000001D10: 80081208
	s_addc_u32 s9, s9, s19                                     // 000000001D14: 82091309
	s_load_dword s33, s[8:9], 0x0                              // 000000001D18: C0020844 00000000
	s_add_u32 s8, s10, s18                                     // 000000001D20: 8008120A
	s_addc_u32 s9, s11, s19                                    // 000000001D24: 8209130B
	s_load_dword s50, s[8:9], 0x0                              // 000000001D28: C0020C84 00000000
	s_waitcnt lgkmcnt(0)                                       // 000000001D30: BF8CC07F
	s_sub_i32 s51, s50, s33                                    // 000000001D34: 81B32132
	s_cmpk_gt_i32 s51, 0x800                                   // 000000001D38: B2330800
	s_mov_b64 s[8:9], -1                                       // 000000001D3C: BE8801C1
	v_and_b32_e32 v6, 0x3ff, v0                                // 000000001D40: 260C00FF 000003FF
	s_cbranch_scc0 2246                                        // 000000001D48: BF8408C6 <_ZN5aiter11PrefillTopKL10topKPerRowILi1024ELi2048ELi2048ELi512EEEvPvPKfPKiS6_PiPfii+0x2464>
	s_mov_b32 s19, 0                                           // 000000001D4C: BE930080
	v_cmp_ne_u32_e64 s[22:23], 0, v6                           // 000000001D50: D0CD0016 00020C80
	v_cmp_eq_u32_e64 s[10:11], 0, v6                           // 000000001D58: D0CA000A 00020C80
	s_and_saveexec_b64 s[8:9], s[10:11]                        // 000000001D60: BE88200A
	s_cbranch_execz 6                                          // 000000001D64: BF880006 <_ZN5aiter11PrefillTopKL10topKPerRowILi1024ELi2048ELi2048ELi512EEEvPvPKfPKiS6_PiPfii+0x180>
	v_mov_b32_e32 v1, 0                                        // 000000001D68: 7E020280
	s_movk_i32 s15, 0x3000                                     // 000000001D6C: B00F3000
	v_add_u32_e64 v2, s15, 0                                   // 000000001D70: D1340002 0001000F
	ds_write2_b32 v2, v1, v1 offset0:96 offset1:98             // 000000001D78: D81C6260 00010102
	s_or_b64 exec, exec, s[8:9]                                // 000000001D80: 87FE087E
	s_load_dwordx2 s[2:3], s[2:3], 0x30                        // 000000001D84: C0060081 00000030
	v_lshlrev_b32_e32 v18, 2, v6                               // 000000001D8C: 24240C82
	v_mov_b32_e32 v9, 0                                        // 000000001D90: 7E120280
	s_waitcnt lgkmcnt(0)                                       // 000000001D94: BF8CC07F
	s_mul_i32 s2, s14, s2                                      // 000000001D98: 9202020E
	s_mul_i32 s8, s33, s3                                      // 000000001D9C: 92080321
	s_ashr_i32 s3, s2, 31                                      // 000000001DA0: 90039F02
	s_lshl_b64 s[38:39], s[2:3], 2                             // 000000001DA4: 8EA68202
	s_add_u32 s2, s6, s38                                      // 000000001DA8: 80022606
	s_addc_u32 s3, s7, s39                                     // 000000001DAC: 82032707
	s_ashr_i32 s9, s8, 31                                      // 000000001DB0: 90099F08
	s_lshl_b64 s[40:41], s[8:9], 2                             // 000000001DB4: 8EA88208
	s_add_u32 s36, s2, s40                                     // 000000001DB8: 80242802
	s_addc_u32 s37, s3, s41                                    // 000000001DBC: 82252903
	ds_write2st64_b32 v18, v9, v9 offset1:16                   // 000000001DC0: D81E1000 00090912
	s_waitcnt lgkmcnt(0)                                       // 000000001DC8: BF8CC07F
	s_barrier                                                  // 000000001DCC: BF8A0000
	s_and_b32 s18, s36, 15                                     // 000000001DD0: 86128F24
	s_sub_i32 s2, 16, s18                                      // 000000001DD4: 81821290
	s_lshr_b32 s2, s2, 2                                       // 000000001DD8: 8F028202
	s_mov_b64 s[8:9], 0                                        // 000000001DDC: BE880180
	s_cmp_lg_u64 s[18:19], 0                                   // 000000001DE0: BF138012
	s_cselect_b32 s53, s2, 0                                   // 000000001DE4: 85358002
	s_sub_i32 s15, s51, s53                                    // 000000001DE8: 818F3533
	s_lshr_b32 s52, s15, 2                                     // 000000001DEC: 8F34820F
	v_cmp_gt_u32_e64 s[24:25], s52, v6                         // 000000001DF0: D0CC0018 00020C34
	v_mov_b32_e32 v1, -1                                       // 000000001DF8: 7E0202C1
	s_and_saveexec_b64 s[18:19], s[24:25]                      // 000000001DFC: BE922018
	s_cbranch_execz 111                                        // 000000001E00: BF88006F <_ZN5aiter11PrefillTopKL10topKPerRowILi1024ELi2048ELi2048ELi512EEEvPvPKfPKiS6_PiPfii+0x3c0>
	v_lshlrev_b32_e32 v8, 4, v6                                // 000000001E04: 24100C84
	v_mov_b32_e32 v9, 0                                        // 000000001E08: 7E120280
	s_lshl_b32 s2, s53, 2                                      // 000000001E0C: 8E028235
	s_add_u32 s2, s6, s2                                       // 000000001E10: 80020206
	s_addc_u32 s3, s7, 0                                       // 000000001E14: 82038007
	s_add_u32 s2, s2, s38                                      // 000000001E18: 80022602
	s_addc_u32 s3, s3, s39                                     // 000000001E1C: 82032703
	s_add_u32 s2, s2, s40                                      // 000000001E20: 80022802
	s_addc_u32 s3, s3, s41                                     // 000000001E24: 82032903
	v_lshl_add_u64 v[10:11], s[2:3], 0, v[8:9]                 // 000000001E28: D208000A 04210002
	v_mov_b32_e32 v1, -1                                       // 000000001E30: 7E0202C1
	s_mov_b64 s[26:27], 0x4000                                 // 000000001E34: BE9A01FF 00004000
	v_mov_b32_e32 v7, v6                                       // 000000001E3C: 7E0E0306
	s_branch 11                                                // 000000001E40: BF82000B <_ZN5aiter11PrefillTopKL10topKPerRowILi1024ELi2048ELi2048ELi512EEEvPvPKfPKiS6_PiPfii+0x270>
	s_or_b64 exec, exec, s[28:29]                              // 000000001E44: 87FE1C7E
	v_add_u32_e32 v2, 1, v3                                    // 000000001E48: 68040681
	v_cndmask_b32_e32 v9, 1, v2, vcc                           // 000000001E4C: 00120481
	v_add_u32_e32 v7, 0x400, v7                                // 000000001E50: 680E0EFF 00000400
	v_cmp_le_u32_e32 vcc, s52, v7                              // 000000001E58: 7D960E34
	s_or_b64 s[8:9], vcc, s[8:9]                               // 000000001E5C: 8788086A
	v_lshl_add_u64 v[10:11], v[10:11], 0, s[26:27]             // 000000001E60: D208000A 0069010A
	s_andn2_b64 exec, exec, s[8:9]                             // 000000001E68: 89FE087E
	s_cbranch_execz 83                                         // 000000001E6C: BF880053 <_ZN5aiter11PrefillTopKL10topKPerRowILi1024ELi2048ELi2048ELi512EEEvPvPKfPKiS6_PiPfii+0x3bc>
	global_load_dwordx4 v[2:5], v[10:11], off                  // 000000001E70: DC5C8000 027F000A
	s_waitcnt vmcnt(0)                                         // 000000001E78: BF8C0F70
	v_cvt_f16_f32_e32 v8, v2                                   // 000000001E7C: 7E101502
	v_and_b32_e32 v12, 0x7fff, v8                              // 000000001E80: 261810FF 00007FFF
	v_xor_b32_e32 v12, 0x7fe0, v12                             // 000000001E88: 2A1818FF 00007FE0
	v_cmp_gt_f32_e32 vcc, 0, v2                                // 000000001E90: 7C880480
	s_nop 1                                                    // 000000001E94: BF800001
	v_cndmask_b32_e32 v2, v12, v8, vcc                         // 000000001E98: 0004110C
	v_lshrrev_b16_e32 v2, 5, v2                                // 000000001E9C: 56040485
	v_cmp_ne_u32_e32 vcc, v1, v2                               // 000000001EA0: 7D9A0501
	v_cmp_lt_i32_e64 s[2:3], -1, v1                            // 000000001EA4: D0C10002 000202C1
	s_and_b64 s[28:29], s[2:3], vcc                            // 000000001EAC: 869C6A02
	s_and_saveexec_b64 s[2:3], s[28:29]                        // 000000001EB0: BE82201C
	s_cbranch_execz 3                                          // 000000001EB4: BF880003 <_ZN5aiter11PrefillTopKL10topKPerRowILi1024ELi2048ELi2048ELi512EEEvPvPKfPKiS6_PiPfii+0x2c4>
	v_lshlrev_b32_e32 v1, 2, v1                                // 000000001EB8: 24020282
	ds_add_u32 v1, v9                                          // 000000001EBC: D8000000 00000901
	s_or_b64 exec, exec, s[2:3]                                // 000000001EC4: 87FE027E
	v_cvt_f16_f32_e32 v1, v3                                   // 000000001EC8: 7E021503
	v_add_u32_e32 v8, 1, v9                                    // 000000001ECC: 68101281
	v_cndmask_b32_e64 v8, v8, 1, vcc                           // 000000001ED0: D1000008 01A90308
	v_and_b32_e32 v9, 0x7fff, v1                               // 000000001ED8: 261202FF 00007FFF
	v_xor_b32_e32 v9, 0x7fe0, v9                               // 000000001EE0: 2A1212FF 00007FE0
	v_cmp_gt_f32_e32 vcc, 0, v3                                // 000000001EE8: 7C880680
	s_nop 1                                                    // 000000001EEC: BF800001
	v_cndmask_b32_e32 v1, v9, v1, vcc                          // 000000001EF0: 00020309
	v_lshrrev_b16_e32 v1, 5, v1                                // 000000001EF4: 56020285
	v_cmp_eq_u16_e32 vcc, v2, v1                               // 000000001EF8: 7D540302
	v_cmp_ne_u16_e64 s[2:3], v2, v1                            // 000000001EFC: D0AD0002 00020302
	s_and_saveexec_b64 s[28:29], s[2:3]                        // 000000001F04: BE9C2002
	s_cbranch_execz 3                                          // 000000001F08: BF880003 <_ZN5aiter11PrefillTopKL10topKPerRowILi1024ELi2048ELi2048ELi512EEEvPvPKfPKiS6_PiPfii+0x318>
	v_lshlrev_b32_e32 v2, 2, v2                                // 000000001F0C: 24040482
	ds_add_u32 v2, v8                                          // 000000001F10: D8000000 00000802
	s_or_b64 exec, exec, s[28:29]                              // 000000001F18: 87FE1C7E
	v_cvt_f16_f32_e32 v2, v4                                   // 000000001F1C: 7E041504
	v_add_u32_e32 v3, 1, v8                                    // 000000001F20: 68061081
	v_cndmask_b32_e32 v3, 1, v3, vcc                           // 000000001F24: 00060681
	v_and_b32_e32 v8, 0x7fff, v2                               // 000000001F28: 261004FF 00007FFF
	v_xor_b32_e32 v8, 0x7fe0, v8                               // 000000001F30: 2A1010FF 00007FE0
	v_cmp_gt_f32_e32 vcc, 0, v4                                // 000000001F38: 7C880880
	s_nop 1                                                    // 000000001F3C: BF800001
	v_cndmask_b32_e32 v2, v8, v2, vcc                          // 000000001F40: 00040508
	v_lshrrev_b16_e32 v2, 5, v2                                // 000000001F44: 56040485
	v_cmp_eq_u16_e32 vcc, v1, v2                               // 000000001F48: 7D540501
	v_cmp_ne_u16_e64 s[2:3], v1, v2                            // 000000001F4C: D0AD0002 00020501
	s_and_saveexec_b64 s[28:29], s[2:3]                        // 000000001F54: BE9C2002
	s_cbranch_execz 3                                          // 000000001F58: BF880003 <_ZN5aiter11PrefillTopKL10topKPerRowILi1024ELi2048ELi2048ELi512EEEvPvPKfPKiS6_PiPfii+0x368>
	v_lshlrev_b32_e32 v1, 2, v1                                // 000000001F5C: 24020282
	ds_add_u32 v1, v3                                          // 000000001F60: D8000000 00000301
	s_or_b64 exec, exec, s[28:29]                              // 000000001F68: 87FE1C7E
	v_cvt_f16_f32_e32 v1, v5                                   // 000000001F6C: 7E021505
	v_add_u32_e32 v3, 1, v3                                    // 000000001F70: 68060681
	v_cndmask_b32_e32 v3, 1, v3, vcc                           // 000000001F74: 00060681
	v_and_b32_e32 v4, 0x7fff, v1                               // 000000001F78: 260802FF 00007FFF
	v_xor_b32_e32 v4, 0x7fe0, v4                               // 000000001F80: 2A0808FF 00007FE0
	v_cmp_gt_f32_e32 vcc, 0, v5                                // 000000001F88: 7C880A80
	s_nop 1                                                    // 000000001F8C: BF800001
	v_cndmask_b32_e32 v1, v4, v1, vcc                          // 000000001F90: 00020304
	v_lshrrev_b16_e32 v1, 5, v1                                // 000000001F94: 56020285
	v_cmp_eq_u16_e32 vcc, v2, v1                               // 000000001F98: 7D540302
	v_cmp_ne_u16_e64 s[2:3], v2, v1                            // 000000001F9C: D0AD0002 00020302
	s_and_saveexec_b64 s[28:29], s[2:3]                        // 000000001FA4: BE9C2002
	s_cbranch_execz 65446                                      // 000000001FA8: BF88FFA6 <_ZN5aiter11PrefillTopKL10topKPerRowILi1024ELi2048ELi2048ELi512EEEvPvPKfPKiS6_PiPfii+0x244>
	v_lshlrev_b32_e32 v2, 2, v2                                // 000000001FAC: 24040482
	ds_add_u32 v2, v3                                          // 000000001FB0: D8000000 00000302
	s_branch 65442                                             // 000000001FB8: BF82FFA2 <_ZN5aiter11PrefillTopKL10topKPerRowILi1024ELi2048ELi2048ELi512EEEvPvPKfPKiS6_PiPfii+0x244>
	s_or_b64 exec, exec, s[8:9]                                // 000000001FBC: 87FE087E
	s_or_b64 exec, exec, s[18:19]                              // 000000001FC0: 87FE127E
	v_cmp_gt_u32_e64 s[2:3], s53, v6                           // 000000001FC4: D0CC0002 00020C35
	s_and_saveexec_b64 s[18:19], s[2:3]                        // 000000001FCC: BE922002
	s_cbranch_execz 26                                         // 000000001FD0: BF88001A <_ZN5aiter11PrefillTopKL10topKPerRowILi1024ELi2048ELi2048ELi512EEEvPvPKfPKiS6_PiPfii+0x43c>
	global_load_dword v2, v18, s[36:37]                        // 000000001FD4: DC508000 02240012
	s_waitcnt vmcnt(0)                                         // 000000001FDC: BF8C0F70
	v_cvt_f16_f32_e32 v3, v2                                   // 000000001FE0: 7E061502
	v_and_b32_e32 v4, 0x7fff, v3                               // 000000001FE4: 260806FF 00007FFF
	v_xor_b32_e32 v4, 0x7fe0, v4                               // 000000001FEC: 2A0808FF 00007FE0
	v_cmp_gt_f32_e32 vcc, 0, v2                                // 000000001FF4: 7C880480
	s_nop 1                                                    // 000000001FF8: BF800001
	v_cndmask_b32_e32 v2, v4, v3, vcc                          // 000000001FFC: 00040704
	v_lshrrev_b16_e32 v2, 5, v2                                // 000000002000: 56040485
	v_cmp_ne_u32_e32 vcc, v1, v2                               // 000000002004: 7D9A0501
	v_cmp_lt_i32_e64 s[8:9], -1, v1                            // 000000002008: D0C10008 000202C1
	s_and_b64 s[26:27], s[8:9], vcc                            // 000000002010: 869A6A08
	s_and_saveexec_b64 s[8:9], s[26:27]                        // 000000002014: BE88201A
	s_cbranch_execz 3                                          // 000000002018: BF880003 <_ZN5aiter11PrefillTopKL10topKPerRowILi1024ELi2048ELi2048ELi512EEEvPvPKfPKiS6_PiPfii+0x428>
	v_lshlrev_b32_e32 v1, 2, v1                                // 00000000201C: 24020282
	ds_add_u32 v1, v9                                          // 000000002020: D8000000 00000901
	s_or_b64 exec, exec, s[8:9]                                // 000000002028: 87FE087E
	v_add_u32_e32 v1, 1, v9                                    // 00000000202C: 68021281
	v_cndmask_b32_e64 v9, v1, 1, vcc                           // 000000002030: D1000009 01A90301
	v_mov_b32_e32 v1, v2                                       // 000000002038: 7E020302
	s_or_b64 exec, exec, s[18:19]                              // 00000000203C: 87FE127E
	s_and_b32 s8, s15, 0x7ffffffc                              // 000000002040: 8608FF0F 7FFFFFFC
	s_add_i32 s8, s8, s53                                      // 000000002048: 81083508
	v_add_u32_e32 v4, s8, v6                                   // 00000000204C: 68080C08
	v_cmp_gt_i32_e64 s[8:9], s51, v4                           // 000000002050: D0C40008 00020833
	s_and_saveexec_b64 s[26:27], s[8:9]                        // 000000002058: BE9A2008
	s_cbranch_execz 29                                         // 00000000205C: BF88001D <_ZN5aiter11PrefillTopKL10topKPerRowILi1024ELi2048ELi2048ELi512EEEvPvPKfPKiS6_PiPfii+0x4d4>
	v_ashrrev_i32_e32 v5, 31, v4                               // 000000002060: 220A089F
	v_lshl_add_u64 v[2:3], v[4:5], 2, s[36:37]                 // 000000002064: D2080002 00910504
	global_load_dword v2, v[2:3], off                          // 00000000206C: DC508000 027F0002
	s_waitcnt vmcnt(0)                                         // 000000002074: BF8C0F70
	v_cvt_f16_f32_e32 v3, v2                                   // 000000002078: 7E061502
	v_and_b32_e32 v5, 0x7fff, v3                               // 00000000207C: 260A06FF 00007FFF
	v_xor_b32_e32 v5, 0x7fe0, v5                               // 000000002084: 2A0A0AFF 00007FE0
	v_cmp_gt_f32_e32 vcc, 0, v2                                // 00000000208C: 7C880480
	s_nop 1                                                    // 000000002090: BF800001
	v_cndmask_b32_e32 v2, v5, v3, vcc                          // 000000002094: 00040705
	v_lshrrev_b16_e32 v2, 5, v2                                // 000000002098: 56040485
	v_cmp_ne_u32_e32 vcc, v1, v2                               // 00000000209C: 7D9A0501
	v_cmp_lt_i32_e64 s[18:19], -1, v1                          // 0000000020A0: D0C10012 000202C1
	s_and_b64 s[28:29], s[18:19], vcc                          // 0000000020A8: 869C6A12
	s_and_saveexec_b64 s[18:19], s[28:29]                      // 0000000020AC: BE92201C
	s_cbranch_execz 3                                          // 0000000020B0: BF880003 <_ZN5aiter11PrefillTopKL10topKPerRowILi1024ELi2048ELi2048ELi512EEEvPvPKfPKiS6_PiPfii+0x4c0>
	v_lshlrev_b32_e32 v1, 2, v1                                // 0000000020B4: 24020282
	ds_add_u32 v1, v9                                          // 0000000020B8: D8000000 00000901
	s_or_b64 exec, exec, s[18:19]                              // 0000000020C0: 87FE127E
	v_add_u32_e32 v1, 1, v9                                    // 0000000020C4: 68021281
	v_cndmask_b32_e64 v9, v1, 1, vcc                           // 0000000020C8: D1000009 01A90301
	v_mov_b32_e32 v1, v2                                       // 0000000020D0: 7E020302
	s_or_b64 exec, exec, s[26:27]                              // 0000000020D4: 87FE1A7E
	v_cmp_lt_i32_e32 vcc, 0, v9                                // 0000000020D8: 7D821280
	v_cmp_lt_i32_e64 s[18:19], -1, v1                          // 0000000020DC: D0C10012 000202C1
	s_and_b64 s[26:27], vcc, s[18:19]                          // 0000000020E4: 869A126A
	s_and_saveexec_b64 s[18:19], s[26:27]                      // 0000000020E8: BE92201A
	s_cbranch_execz 3                                          // 0000000020EC: BF880003 <_ZN5aiter11PrefillTopKL10topKPerRowILi1024ELi2048ELi2048ELi512EEEvPvPKfPKiS6_PiPfii+0x4fc>
	v_lshlrev_b32_e32 v1, 2, v1                                // 0000000020F0: 24020282
	ds_add_u32 v1, v9                                          // 0000000020F4: D8000000 00000901
	s_or_b64 exec, exec, s[18:19]                              // 0000000020FC: 87FE127E
	s_waitcnt lgkmcnt(0)                                       // 000000002100: BF8CC07F
	s_barrier                                                  // 000000002104: BF8A0000
	v_lshrrev_b32_e32 v1, 5, v6                                // 000000002108: 20020C85
	v_add_lshl_u32 v5, v1, v6, 2                               // 00000000210C: D1FE0005 020A0D01
	v_cmp_gt_u32_e64 s[18:19], 64, v6                          // 000000002114: D0CC0012 00020CC0
	v_lshrrev_b32_e32 v1, 1, v6                                // 00000000211C: 20020C81
	s_load_dwordx2 s[26:27], s[0:1], 0x4                       // 000000002120: C0060680 00000004
	v_lshl_add_u32 v1, v6, 4, v1                               // 000000002128: D1FD0001 04050906
	v_mov_b32_e32 v2, 0x2000                                   // 000000002130: 7E0402FF 00002000
	v_lshl_add_u32 v1, v1, 2, v2                               // 000000002138: D1FD0001 04090501
	s_load_dwordx4 s[28:31], s[0:1], 0xc                       // 000000002140: C00A0700 0000000C
	s_waitcnt lgkmcnt(0)                                       // 000000002148: BF8CC07F
	s_and_b32 s15, s27, 0xffff                                 // 00000000214C: 860FFF1B 0000FFFF
	ds_read_b32 v3, v18                                        // 000000002154: D86C0000 03000012
	s_lshr_b32 s17, s26, 16                                    // 00000000215C: 8F11901A
	s_mul_i32 s16, s16, s15                                    // 000000002160: 92100F10
	s_mul_i32 s21, s20, s17                                    // 000000002164: 92151114
	s_and_b32 s20, s26, 0xffff                                 // 000000002168: 8614FF1A 0000FFFF
	s_waitcnt lgkmcnt(0)                                       // 000000002170: BF8CC07F
	ds_write_b32 v5, v3 offset:8192                            // 000000002174: D81A2000 00000305
	s_waitcnt lgkmcnt(0)                                       // 00000000217C: BF8CC07F
	s_barrier                                                  // 000000002180: BF8A0000
	s_and_saveexec_b64 s[0:1], s[18:19]                        // 000000002184: BE802012
	s_cbranch_execz 128                                        // 000000002188: BF880080 <_ZN5aiter11PrefillTopKL10topKPerRowILi1024ELi2048ELi2048ELi512EEEvPvPKfPKiS6_PiPfii+0x78c>
	ds_read2_b32 v[8:9], v1 offset1:1                          // 00000000218C: D86E0100 08000001
	ds_read2_b32 v[10:11], v1 offset0:2 offset1:3              // 000000002194: D86E0302 0A000001
	ds_read2_b32 v[12:13], v1 offset0:4 offset1:5              // 00000000219C: D86E0504 0C000001
	ds_read2_b32 v[14:15], v1 offset0:6 offset1:7              // 0000000021A4: D86E0706 0E000001
	s_waitcnt lgkmcnt(3)                                       // 0000000021AC: BF8CC37F
	v_add_u32_e32 v7, v9, v8                                   // 0000000021B0: 680E1109
	s_waitcnt lgkmcnt(2)                                       // 0000000021B4: BF8CC27F
	v_add3_u32 v7, v7, v10, v11                                // 0000000021B8: D1FF0007 042E1507
	s_waitcnt lgkmcnt(1)                                       // 0000000021C0: BF8CC17F
	v_add3_u32 v7, v7, v12, v13                                // 0000000021C4: D1FF0007 04361907
	ds_read2_b32 v[16:17], v1 offset0:8 offset1:9              // 0000000021CC: D86E0908 10000001
	ds_read2_b32 v[20:21], v1 offset0:10 offset1:11            // 0000000021D4: D86E0B0A 14000001
	ds_read2_b32 v[22:23], v1 offset0:12 offset1:13            // 0000000021DC: D86E0D0C 16000001
	ds_read2_b32 v[24:25], v1 offset0:14 offset1:15            // 0000000021E4: D86E0F0E 18000001
	s_waitcnt lgkmcnt(4)                                       // 0000000021EC: BF8CC47F
	v_add3_u32 v7, v7, v14, v15                                // 0000000021F0: D1FF0007 043E1D07
	s_waitcnt lgkmcnt(3)                                       // 0000000021F8: BF8CC37F
	v_add3_u32 v7, v7, v16, v17                                // 0000000021FC: D1FF0007 04462107
	s_waitcnt lgkmcnt(2)                                       // 000000002204: BF8CC27F
	v_add3_u32 v7, v7, v20, v21                                // 000000002208: D1FF0007 04562907
	s_waitcnt lgkmcnt(1)                                       // 000000002210: BF8CC17F
	v_add3_u32 v7, v7, v22, v23                                // 000000002214: D1FF0007 045E2D07
	s_waitcnt lgkmcnt(0)                                       // 00000000221C: BF8CC07F
	v_add3_u32 v7, v7, v24, v25                                // 000000002220: D1FF0007 04663107
	v_mbcnt_lo_u32_b32 v19, -1, 0                              // 000000002228: D28C0013 000100C1
	v_mbcnt_hi_u32_b32 v19, -1, v19                            // 000000002230: D28D0013 000226C1
	v_and_b32_e32 v26, 15, v19                                 // 000000002238: 2634268F
	v_mov_b32_dpp v27, v7 row_shr:1 row_mask:0xf bank_mask:0xf // 00000000223C: 7E3602FA FF011107
	v_cmp_ne_u32_e32 vcc, 0, v26                               // 000000002244: 7D9A3480
	s_nop 1                                                    // 000000002248: BF800001
	v_cndmask_b32_e32 v27, 0, v27, vcc                         // 00000000224C: 00363680
	v_add_u32_e32 v7, v27, v7                                  // 000000002250: 680E0F1B
	s_nop 1                                                    // 000000002254: BF800001
	v_mov_b32_dpp v27, v7 row_shr:2 row_mask:0xf bank_mask:0xf // 000000002258: 7E3602FA FF011207
	v_cmp_lt_u32_e32 vcc, 1, v26                               // 000000002260: 7D923481
	s_nop 1                                                    // 000000002264: BF800001
	v_cndmask_b32_e32 v27, 0, v27, vcc                         // 000000002268: 00363680
	v_add_u32_e32 v7, v7, v27                                  // 00000000226C: 680E3707
	s_nop 1                                                    // 000000002270: BF800001
	v_mov_b32_dpp v27, v7 row_shr:4 row_mask:0xf bank_mask:0xf // 000000002274: 7E3602FA FF011407
	v_cmp_lt_u32_e32 vcc, 3, v26                               // 00000000227C: 7D923483
	s_nop 1                                                    // 000000002280: BF800001
	v_cndmask_b32_e32 v27, 0, v27, vcc                         // 000000002284: 00363680
	v_add_u32_e32 v7, v7, v27                                  // 000000002288: 680E3707
	s_nop 1                                                    // 00000000228C: BF800001
	v_mov_b32_dpp v27, v7 row_shr:8 row_mask:0xf bank_mask:0xf // 000000002290: 7E3602FA FF011807
	v_cmp_lt_u32_e32 vcc, 7, v26                               // 000000002298: 7D923487
	s_nop 1                                                    // 00000000229C: BF800001
	v_cndmask_b32_e32 v26, 0, v27, vcc                         // 0000000022A0: 00343680
	v_add_u32_e32 v7, v7, v26                                  // 0000000022A4: 680E3507
	s_nop 1                                                    // 0000000022A8: BF800001
	v_mov_b32_dpp v26, v7 row_bcast:15 row_mask:0xf bank_mask:0xf// 0000000022AC: 7E3402FA FF014207
	v_bfe_i32 v27, v19, 4, 1                                   // 0000000022B4: D1C9001B 02050913
	v_and_b32_e32 v26, v27, v26                                // 0000000022BC: 2634351B
	v_add_u32_e32 v7, v7, v26                                  // 0000000022C0: 680E3507
	s_nop 1                                                    // 0000000022C4: BF800001
	v_mov_b32_dpp v26, v7 row_bcast:31 row_mask:0xf bank_mask:0xf// 0000000022C8: 7E3402FA FF014307
	v_cmp_lt_u32_e32 vcc, 31, v19                              // 0000000022D0: 7D92269F
	s_nop 1                                                    // 0000000022D4: BF800001
	v_cndmask_b32_e32 v26, 0, v26, vcc                         // 0000000022D8: 00343480
	v_add_u32_e32 v7, v7, v26                                  // 0000000022DC: 680E3507
	v_add_u32_e32 v26, -1, v19                                 // 0000000022E0: 683426C1
	v_and_b32_e32 v27, 64, v19                                 // 0000000022E4: 263626C0
	v_cmp_lt_i32_e32 vcc, v26, v27                             // 0000000022E8: 7D82371A
	s_nop 1                                                    // 0000000022EC: BF800001
	v_cndmask_b32_e32 v19, v26, v19, vcc                       // 0000000022F0: 0026271A
	v_lshlrev_b32_e32 v19, 2, v19                              // 0000000022F4: 24262682
	ds_bpermute_b32 v7, v19, v7                                // 0000000022F8: D87E0000 07000713
	s_waitcnt lgkmcnt(0)                                       // 000000002300: BF8CC07F
	v_add_u32_e32 v7, v7, v8                                   // 000000002304: 680E1107
	v_cndmask_b32_e64 v3, v7, v3, s[10:11]                     // 000000002308: D1000003 002A0707
	v_add_u32_e32 v7, v3, v9                                   // 000000002310: 680E1303
	ds_write2_b32 v1, v3, v7 offset1:1                         // 000000002314: D81C0100 00070301
	v_add_u32_e32 v3, v7, v10                                  // 00000000231C: 68061507
	v_add_u32_e32 v7, v3, v11                                  // 000000002320: 680E1703
	ds_write2_b32 v1, v3, v7 offset0:2 offset1:3               // 000000002324: D81C0302 00070301
	v_add_u32_e32 v3, v7, v12                                  // 00000000232C: 68061907
	v_add_u32_e32 v7, v3, v13                                  // 000000002330: 680E1B03
	ds_write2_b32 v1, v3, v7 offset0:4 offset1:5               // 000000002334: D81C0504 00070301
	v_add_u32_e32 v3, v7, v14                                  // 00000000233C: 68061D07
	v_add_u32_e32 v7, v3, v15                                  // 000000002340: 680E1F03
	ds_write2_b32 v1, v3, v7 offset0:6 offset1:7               // 000000002344: D81C0706 00070301
	v_add_u32_e32 v3, v7, v16                                  // 00000000234C: 68062107
	v_add_u32_e32 v7, v3, v17                                  // 000000002350: 680E2303
	ds_write2_b32 v1, v3, v7 offset0:8 offset1:9               // 000000002354: D81C0908 00070301
	v_add_u32_e32 v3, v7, v20                                  // 00000000235C: 68062907
	v_add_u32_e32 v7, v3, v21                                  // 000000002360: 680E2B03
	ds_write2_b32 v1, v3, v7 offset0:10 offset1:11             // 000000002364: D81C0B0A 00070301
	v_add_u32_e32 v3, v7, v22                                  // 00000000236C: 68062D07
	v_add_u32_e32 v7, v3, v23                                  // 000000002370: 680E2F03
	ds_write2_b32 v1, v3, v7 offset0:12 offset1:13             // 000000002374: D81C0D0C 00070301
	v_add_u32_e32 v3, v7, v24                                  // 00000000237C: 68063107
	v_add_u32_e32 v7, v3, v25                                  // 000000002380: 680E3303
	ds_write2_b32 v1, v3, v7 offset0:14 offset1:15             // 000000002384: D81C0F0E 00070301
	s_or_b64 exec, exec, s[0:1]                                // 00000000238C: 87FE007E
	s_sub_i32 s26, s29, s21                                    // 000000002390: 819A151D
	s_sub_i32 s16, s30, s16                                    // 000000002394: 8190101E
	s_mul_i32 s14, s14, s20                                    // 000000002398: 920E140E
	v_add_u32_e32 v3, -1, v6                                   // 00000000239C: 68060CC1
	v_lshrrev_b32_e32 v7, 5, v3                                // 0000000023A0: 200E0685
	v_add_u32_e32 v3, v7, v3                                   // 0000000023A4: 68060707
	v_lshl_add_u32 v2, v3, 2, v2                               // 0000000023A8: D1FD0002 04090503
	s_waitcnt lgkmcnt(0)                                       // 0000000023B0: BF8CC07F
	s_barrier                                                  // 0000000023B4: BF8A0000
	v_mov_b32_e32 v7, 0                                        // 0000000023B8: 7E0E0280
	v_mov_b32_e32 v8, 0                                        // 0000000023BC: 7E100280
	s_and_saveexec_b64 s[0:1], s[22:23]                        // 0000000023C0: BE802016
	s_cbranch_execz 2                                          // 0000000023C4: BF880002 <_ZN5aiter11PrefillTopKL10topKPerRowILi1024ELi2048ELi2048ELi512EEEvPvPKfPKiS6_PiPfii+0x7d0>
	ds_read_b32 v8, v2                                         // 0000000023C8: D86C0000 08000002
	s_or_b64 exec, exec, s[0:1]                                // 0000000023D0: 87FE007E
	s_min_u32 s21, s16, s15                                    // 0000000023D4: 83950F10
	s_min_u32 s26, s26, s17                                    // 0000000023D8: 839A111A
	s_sub_i32 s27, s28, s14                                    // 0000000023DC: 819B0E1C
	v_bfe_u32 v9, v0, 20, 10                                   // 0000000023E0: D1C80009 02292900
	s_movk_i32 s0, 0x3ff                                       // 0000000023E8: B00003FF
	v_cmp_ne_u32_e64 s[0:1], s0, v6                            // 0000000023EC: D0CD0000 00020C00
	ds_read_b32 v3, v7 offset:12408                            // 0000000023F4: D86C3078 03000007
	s_waitcnt lgkmcnt(1)                                       // 0000000023FC: BF8CC17F
	ds_write_b32 v18, v8                                       // 000000002400: D81A0000 00000812
	s_waitcnt lgkmcnt(0)                                       // 000000002408: BF8CC07F
	s_barrier                                                  // 00000000240C: BF8A0000
	s_movk_i32 s14, 0x800                                      // 000000002410: B00E0800
	v_cmp_gt_i32_e32 vcc, s14, v8                              // 000000002414: 7D88100E
	s_and_saveexec_b64 s[14:15], vcc                           // 000000002418: BE8E206A
	s_cbranch_execz 22                                         // 00000000241C: BF880016 <_ZN5aiter11PrefillTopKL10topKPerRowILi1024ELi2048ELi2048ELi512EEEvPvPKfPKiS6_PiPfii+0x878>
	v_mov_b32_e32 v10, v3                                      // 000000002420: 7E140303
	s_and_saveexec_b64 s[16:17], s[0:1]                        // 000000002424: BE902000
	s_cbranch_execz 2                                          // 000000002428: BF880002 <_ZN5aiter11PrefillTopKL10topKPerRowILi1024ELi2048ELi2048ELi512EEEvPvPKfPKiS6_PiPfii+0x834>
	ds_read_b32 v10, v18 offset:4                              // 00000000242C: D86C0004 0A000012
	s_or_b64 exec, exec, s[16:17]                              // 000000002434: 87FE107E
	s_movk_i32 s16, 0x7ff                                      // 000000002438: B01007FF
	s_waitcnt lgkmcnt(0)                                       // 00000000243C: BF8CC07F
	v_cmp_lt_i32_e32 vcc, s16, v10                             // 000000002440: 7D821410
	v_mov_b32_e32 v7, 0                                        // 000000002444: 7E0E0280
	s_and_saveexec_b64 s[16:17], vcc                           // 000000002448: BE90206A
	s_cbranch_execz 9                                          // 00000000244C: BF880009 <_ZN5aiter11PrefillTopKL10topKPerRowILi1024ELi2048ELi2048ELi512EEEvPvPKfPKiS6_PiPfii+0x874>
	v_sub_u32_e32 v7, v10, v8                                  // 000000002450: 6A0E110A
	v_mov_b32_e32 v10, 0                                       // 000000002454: 7E140280
	ds_write_b32 v10, v6 offset:12684                          // 000000002458: D81A318C 0000060A
	v_mov_b32_e32 v10, 0x3184                                  // 000000002460: 7E1402FF 00003184
	ds_write2_b32 v10, v7, v8 offset1:1                        // 000000002468: D81C0100 0008070A
	v_mov_b32_e32 v7, 1                                        // 000000002470: 7E0E0281
	s_or_b64 exec, exec, s[16:17]                              // 000000002474: 87FE107E
	s_or_b64 exec, exec, s[14:15]                              // 000000002478: 87FE0E7E
	v_or_b32_e32 v5, 0x2000, v5                                // 00000000247C: 280A0AFF 00002000
	s_min_u32 s54, s27, s20                                    // 000000002484: 83B6141B
	v_mul_u32_u24_e32 v8, s26, v9                              // 000000002488: 1010121A
	v_bfe_u32 v0, v0, 10, 10                                   // 00000000248C: D1C80000 02291500
	s_mul_i32 s14, s26, s21                                    // 000000002494: 920E151A
	s_mul_i32 s14, s14, s54                                    // 000000002498: 920E360E
	s_add_i32 s14, s14, 63                                     // 00000000249C: 810EBF0E
	s_and_b32 s14, s14, 0x7fffffc0                             // 0000000024A0: 860EFF0E 7FFFFFC0
	s_cmp_lg_u32 s14, 64                                       // 0000000024A8: BF07C00E
	s_cselect_b64 s[16:17], -1, 0                              // 0000000024AC: 859080C1
	v_or_b32_dpp v7, v7, v7 row_shl:1 row_mask:0xf bank_mask:0xf bound_ctrl:1// 0000000024B0: 280E0EFA FF090107
	s_nop 1                                                    // 0000000024B8: BF800001
	v_or_b32_dpp v7, v7, v7 row_shl:2 row_mask:0xf bank_mask:0xf bound_ctrl:1// 0000000024BC: 280E0EFA FF090207
	s_nop 1                                                    // 0000000024C4: BF800001
	v_or_b32_dpp v7, v7, v7 row_shl:4 row_mask:0xf bank_mask:0xf bound_ctrl:1// 0000000024C8: 280E0EFA FF090407
	s_nop 1                                                    // 0000000024D0: BF800001
	v_or_b32_dpp v7, v7, v7 row_shl:8 row_mask:0xf bank_mask:0xf bound_ctrl:1// 0000000024D4: 280E0EFA FF090807
	s_nop 1                                                    // 0000000024DC: BF800001
	v_mov_b32_dpp v9, v7 wave_shl:1 row_mask:0xf bank_mask:0xf bound_ctrl:1// 0000000024E0: 7E1202FA FF093007
	s_nop 1                                                    // 0000000024E8: BF800001
	v_or_b32_dpp v7, v9, v7 row_mirror row_mask:0xf bank_mask:0xf bound_ctrl:1// 0000000024EC: 280E0EFA FF094009
	s_nop 0                                                    // 0000000024F4: BF800000
	v_readlane_b32 s15, v7, 32                                 // 0000000024F8: D289000F 00014107
	s_bitcmp1_b32 exec_hi, 0                                   // 000000002500: BF0D807F
	s_cselect_b32 s15, s15, 0                                  // 000000002504: 850F800F
	v_readlane_b32 s20, v7, 0                                  // 000000002508: D2890014 00010107
	s_or_b32 s26, s15, s20                                     // 000000002510: 871A140F
	s_cmp_eq_u32 s14, 64                                       // 000000002514: BF06C00E
	v_add_u32_e32 v0, v8, v0                                   // 000000002518: 68000108
	v_mad_u64_u32 v[8:9], s[14:15], s54, v0, v[6:7]            // 00000000251C: D1E80E08 041A0036
	v_lshrrev_b32_e32 v0, 6, v8                                // 000000002524: 20001086
	v_cmp_lt_u32_e64 s[14:15], 63, v8                          // 000000002528: D0C9000E 000210BF
	v_mov_b32_e32 v7, s26                                      // 000000002530: 7E0E021A
	s_cbranch_scc1 38                                          // 000000002534: BF850026 <_ZN5aiter11PrefillTopKL10topKPerRowILi1024ELi2048ELi2048ELi512EEEvPvPKfPKiS6_PiPfii+0x9d0>
	v_mbcnt_lo_u32_b32 v7, -1, 0                               // 000000002538: D28C0007 000100C1
	v_mbcnt_hi_u32_b32 v7, -1, v7                              // 000000002540: D28D0007 00020EC1
	v_or_b32_e32 v8, v7, v0                                    // 000000002548: 28100107
	v_cmp_eq_u32_e32 vcc, 0, v8                                // 00000000254C: 7D941080
	s_and_saveexec_b64 s[20:21], vcc                           // 000000002550: BE94206A
	s_cbranch_execz 4                                          // 000000002554: BF880004 <_ZN5aiter11PrefillTopKL10topKPerRowILi1024ELi2048ELi2048ELi512EEEvPvPKfPKiS6_PiPfii+0x968>
	v_mov_b32_e32 v8, 0                                        // 000000002558: 7E100280
	v_mov_b32_e32 v9, s26                                      // 00000000255C: 7E12021A
	ds_write_b32 v8, v9 offset:12416                           // 000000002560: D81A3080 00000908
	s_or_b64 exec, exec, s[20:21]                              // 000000002568: 87FE147E
	v_cmp_eq_u32_e32 vcc, 0, v7                                // 00000000256C: 7D940E80
	s_waitcnt lgkmcnt(0)                                       // 000000002570: BF8CC07F
	s_barrier                                                  // 000000002574: BF8A0000
	s_and_b64 s[28:29], s[14:15], vcc                          // 000000002578: 869C6A0E
	s_and_saveexec_b64 s[20:21], s[28:29]                      // 00000000257C: BE94201C
	s_cbranch_execz 11                                         // 000000002580: BF88000B <_ZN5aiter11PrefillTopKL10topKPerRowILi1024ELi2048ELi2048ELi512EEEvPvPKfPKiS6_PiPfii+0x9b0>
	v_mbcnt_lo_u32_b32 v7, exec_lo, 0                          // 000000002584: D28C0007 0001007E
	v_mbcnt_hi_u32_b32 v7, exec_hi, v7                         // 00000000258C: D28D0007 00020E7F
	v_cmp_eq_u32_e32 vcc, 0, v7                                // 000000002594: 7D940E80
	s_and_b64 exec, exec, vcc                                  // 000000002598: 86FE6A7E
	s_cbranch_execz 4                                          // 00000000259C: BF880004 <_ZN5aiter11PrefillTopKL10topKPerRowILi1024ELi2048ELi2048ELi512EEEvPvPKfPKiS6_PiPfii+0x9b0>
	v_mov_b32_e32 v7, 0                                        // 0000000025A0: 7E0E0280
	v_mov_b32_e32 v8, s26                                      // 0000000025A4: 7E10021A
	ds_or_b32 v7, v8 offset:12416                              // 0000000025A8: D8143080 00000807
	s_or_b64 exec, exec, s[20:21]                              // 0000000025B0: 87FE147E
	s_waitcnt lgkmcnt(0)                                       // 0000000025B4: BF8CC07F
	s_barrier                                                  // 0000000025B8: BF8A0000
	v_mov_b32_e32 v7, 0                                        // 0000000025BC: 7E0E0280
	ds_read_b32 v7, v7 offset:12416                            // 0000000025C0: D86C3080 07000007
	s_waitcnt lgkmcnt(0)                                       // 0000000025C8: BF8CC07F
	s_barrier                                                  // 0000000025CC: BF8A0000
	v_cmp_eq_u32_e32 vcc, 0, v7                                // 0000000025D0: 7D940E80
	s_cbranch_vccz 249                                         // 0000000025D4: BF8600F9 <_ZN5aiter11PrefillTopKL10topKPerRowILi1024ELi2048ELi2048ELi512EEEvPvPKfPKiS6_PiPfii+0xdbc>
	ds_read_b32 v7, v18 offset:4096                            // 0000000025D8: D86C1000 07000012
	s_waitcnt lgkmcnt(0)                                       // 0000000025E0: BF8CC07F
	ds_write_b32 v5, v7                                        // 0000000025E4: D81A0000 00000705
	s_waitcnt lgkmcnt(0)                                       // 0000000025EC: BF8CC07F
	s_barrier                                                  // 0000000025F0: BF8A0000
	s_and_saveexec_b64 s[20:21], s[18:19]                      // 0000000025F4: BE942012
	s_cbranch_execz 128                                        // 0000000025F8: BF880080 <_ZN5aiter11PrefillTopKL10topKPerRowILi1024ELi2048ELi2048ELi512EEEvPvPKfPKiS6_PiPfii+0xbfc>
	ds_read2_b32 v[8:9], v1 offset1:1                          // 0000000025FC: D86E0100 08000001
	ds_read2_b32 v[10:11], v1 offset0:2 offset1:3              // 000000002604: D86E0302 0A000001
	ds_read2_b32 v[12:13], v1 offset0:4 offset1:5              // 00000000260C: D86E0504 0C000001
	ds_read2_b32 v[14:15], v1 offset0:6 offset1:7              // 000000002614: D86E0706 0E000001
	s_waitcnt lgkmcnt(3)                                       // 00000000261C: BF8CC37F
	v_add_u32_e32 v5, v9, v8                                   // 000000002620: 680A1109
	s_waitcnt lgkmcnt(2)                                       // 000000002624: BF8CC27F
	v_add3_u32 v5, v5, v10, v11                                // 000000002628: D1FF0005 042E1505
	s_waitcnt lgkmcnt(1)                                       // 000000002630: BF8CC17F
	v_add3_u32 v5, v5, v12, v13                                // 000000002634: D1FF0005 04361905
	ds_read2_b32 v[16:17], v1 offset0:8 offset1:9              // 00000000263C: D86E0908 10000001
	ds_read2_b32 v[20:21], v1 offset0:10 offset1:11            // 000000002644: D86E0B0A 14000001
	ds_read2_b32 v[22:23], v1 offset0:12 offset1:13            // 00000000264C: D86E0D0C 16000001
	ds_read2_b32 v[24:25], v1 offset0:14 offset1:15            // 000000002654: D86E0F0E 18000001
	s_waitcnt lgkmcnt(4)                                       // 00000000265C: BF8CC47F
	v_add3_u32 v5, v5, v14, v15                                // 000000002660: D1FF0005 043E1D05
	s_waitcnt lgkmcnt(3)                                       // 000000002668: BF8CC37F
	v_add3_u32 v5, v5, v16, v17                                // 00000000266C: D1FF0005 04462105
	s_waitcnt lgkmcnt(2)                                       // 000000002674: BF8CC27F
	v_add3_u32 v5, v5, v20, v21                                // 000000002678: D1FF0005 04562905
	s_waitcnt lgkmcnt(1)                                       // 000000002680: BF8CC17F
	v_add3_u32 v5, v5, v22, v23                                // 000000002684: D1FF0005 045E2D05
	s_waitcnt lgkmcnt(0)                                       // 00000000268C: BF8CC07F
	v_add3_u32 v5, v5, v24, v25                                // 000000002690: D1FF0005 04663105
	v_mbcnt_lo_u32_b32 v19, -1, 0                              // 000000002698: D28C0013 000100C1
	v_mbcnt_hi_u32_b32 v19, -1, v19                            // 0000000026A0: D28D0013 000226C1
	v_and_b32_e32 v26, 15, v19                                 // 0000000026A8: 2634268F
	v_mov_b32_dpp v27, v5 row_shr:1 row_mask:0xf bank_mask:0xf // 0000000026AC: 7E3602FA FF011105
	v_cmp_ne_u32_e32 vcc, 0, v26                               // 0000000026B4: 7D9A3480
	s_nop 1                                                    // 0000000026B8: BF800001
	v_cndmask_b32_e32 v27, 0, v27, vcc                         // 0000000026BC: 00363680
	v_add_u32_e32 v5, v27, v5                                  // 0000000026C0: 680A0B1B
	s_nop 1                                                    // 0000000026C4: BF800001
	v_mov_b32_dpp v27, v5 row_shr:2 row_mask:0xf bank_mask:0xf // 0000000026C8: 7E3602FA FF011205
	v_cmp_lt_u32_e32 vcc, 1, v26                               // 0000000026D0: 7D923481
	s_nop 1                                                    // 0000000026D4: BF800001
	v_cndmask_b32_e32 v27, 0, v27, vcc                         // 0000000026D8: 00363680
	v_add_u32_e32 v5, v5, v27                                  // 0000000026DC: 680A3705
	s_nop 1                                                    // 0000000026E0: BF800001
	v_mov_b32_dpp v27, v5 row_shr:4 row_mask:0xf bank_mask:0xf // 0000000026E4: 7E3602FA FF011405
	v_cmp_lt_u32_e32 vcc, 3, v26                               // 0000000026EC: 7D923483
	s_nop 1                                                    // 0000000026F0: BF800001
	v_cndmask_b32_e32 v27, 0, v27, vcc                         // 0000000026F4: 00363680
	v_add_u32_e32 v5, v5, v27                                  // 0000000026F8: 680A3705
	s_nop 1                                                    // 0000000026FC: BF800001
	v_mov_b32_dpp v27, v5 row_shr:8 row_mask:0xf bank_mask:0xf // 000000002700: 7E3602FA FF011805
	v_cmp_lt_u32_e32 vcc, 7, v26                               // 000000002708: 7D923487
	s_nop 1                                                    // 00000000270C: BF800001
	v_cndmask_b32_e32 v26, 0, v27, vcc                         // 000000002710: 00343680
	v_add_u32_e32 v5, v5, v26                                  // 000000002714: 680A3505
	s_nop 1                                                    // 000000002718: BF800001
	v_mov_b32_dpp v26, v5 row_bcast:15 row_mask:0xf bank_mask:0xf// 00000000271C: 7E3402FA FF014205
	v_bfe_i32 v27, v19, 4, 1                                   // 000000002724: D1C9001B 02050913
	v_and_b32_e32 v26, v27, v26                                // 00000000272C: 2634351B
	v_add_u32_e32 v5, v5, v26                                  // 000000002730: 680A3505
	s_nop 1                                                    // 000000002734: BF800001
	v_mov_b32_dpp v26, v5 row_bcast:31 row_mask:0xf bank_mask:0xf// 000000002738: 7E3402FA FF014305
	v_cmp_lt_u32_e32 vcc, 31, v19                              // 000000002740: 7D92269F
	s_nop 1                                                    // 000000002744: BF800001
	v_cndmask_b32_e32 v26, 0, v26, vcc                         // 000000002748: 00343480
	v_add_u32_e32 v5, v5, v26                                  // 00000000274C: 680A3505
	v_add_u32_e32 v26, -1, v19                                 // 000000002750: 683426C1
	v_and_b32_e32 v27, 64, v19                                 // 000000002754: 263626C0
	v_cmp_lt_i32_e32 vcc, v26, v27                             // 000000002758: 7D82371A
	s_nop 1                                                    // 00000000275C: BF800001
	v_cndmask_b32_e32 v19, v26, v19, vcc                       // 000000002760: 0026271A
	v_lshlrev_b32_e32 v19, 2, v19                              // 000000002764: 24262682
	ds_bpermute_b32 v5, v19, v5                                // 000000002768: D87E0000 05000513
	s_waitcnt lgkmcnt(0)                                       // 000000002770: BF8CC07F
	v_add_u32_e32 v5, v5, v8                                   // 000000002774: 680A1105
	v_cndmask_b32_e64 v5, v5, v7, s[10:11]                     // 000000002778: D1000005 002A0F05
	v_add_u32_e32 v7, v5, v9                                   // 000000002780: 680E1305
	ds_write2_b32 v1, v5, v7 offset1:1                         // 000000002784: D81C0100 00070501
	v_add_u32_e32 v5, v7, v10                                  // 00000000278C: 680A1507
	v_add_u32_e32 v7, v5, v11                                  // 000000002790: 680E1705
	ds_write2_b32 v1, v5, v7 offset0:2 offset1:3               // 000000002794: D81C0302 00070501
	v_add_u32_e32 v5, v7, v12                                  // 00000000279C: 680A1907
	v_add_u32_e32 v7, v5, v13                                  // 0000000027A0: 680E1B05
	ds_write2_b32 v1, v5, v7 offset0:4 offset1:5               // 0000000027A4: D81C0504 00070501
	v_add_u32_e32 v5, v7, v14                                  // 0000000027AC: 680A1D07
	v_add_u32_e32 v7, v5, v15                                  // 0000000027B0: 680E1F05
	ds_write2_b32 v1, v5, v7 offset0:6 offset1:7               // 0000000027B4: D81C0706 00070501
	v_add_u32_e32 v5, v7, v16                                  // 0000000027BC: 680A2107
	v_add_u32_e32 v7, v5, v17                                  // 0000000027C0: 680E2305
	ds_write2_b32 v1, v5, v7 offset0:8 offset1:9               // 0000000027C4: D81C0908 00070501
	v_add_u32_e32 v5, v7, v20                                  // 0000000027CC: 680A2907
	v_add_u32_e32 v7, v5, v21                                  // 0000000027D0: 680E2B05
	ds_write2_b32 v1, v5, v7 offset0:10 offset1:11             // 0000000027D4: D81C0B0A 00070501
	v_add_u32_e32 v5, v7, v22                                  // 0000000027DC: 680A2D07
	v_add_u32_e32 v7, v5, v23                                  // 0000000027E0: 680E2F05
	ds_write2_b32 v1, v5, v7 offset0:12 offset1:13             // 0000000027E4: D81C0D0C 00070501
	v_add_u32_e32 v5, v7, v24                                  // 0000000027EC: 680A3107
	v_add_u32_e32 v7, v5, v25                                  // 0000000027F0: 680E3305
	ds_write2_b32 v1, v5, v7 offset0:14 offset1:15             // 0000000027F4: D81C0F0E 00070501
	s_or_b64 exec, exec, s[20:21]                              // 0000000027FC: 87FE147E
	s_waitcnt lgkmcnt(0)                                       // 000000002800: BF8CC07F
	s_barrier                                                  // 000000002804: BF8A0000
	v_mov_b32_e32 v1, 0                                        // 000000002808: 7E020280
	v_mov_b32_e32 v7, 0                                        // 00000000280C: 7E0E0280
	s_and_saveexec_b64 s[20:21], s[22:23]                      // 000000002810: BE942016
	s_cbranch_execz 2                                          // 000000002814: BF880002 <_ZN5aiter11PrefillTopKL10topKPerRowILi1024ELi2048ELi2048ELi512EEEvPvPKfPKiS6_PiPfii+0xc20>
	ds_read_b32 v7, v2                                         // 000000002818: D86C0000 07000002
	s_or_b64 exec, exec, s[20:21]                              // 000000002820: 87FE147E
	ds_read_b32 v5, v1 offset:12408                            // 000000002824: D86C3078 05000001
	s_waitcnt lgkmcnt(1)                                       // 00000000282C: BF8CC17F
	v_add_u32_e32 v2, v7, v3                                   // 000000002830: 68040707
	ds_write_b32 v18, v2 offset:4096                           // 000000002834: D81A1000 00000212
	s_waitcnt lgkmcnt(0)                                       // 00000000283C: BF8CC07F
	s_barrier                                                  // 000000002840: BF8A0000
	s_movk_i32 s20, 0x800                                      // 000000002844: B0140800
	v_cmp_gt_i32_e32 vcc, s20, v2                              // 000000002848: 7D880414
	s_and_saveexec_b64 s[20:21], vcc                           // 00000000284C: BE94206A
	s_cbranch_execz 24                                         // 000000002850: BF880018 <_ZN5aiter11PrefillTopKL10topKPerRowILi1024ELi2048ELi2048ELi512EEEvPvPKfPKiS6_PiPfii+0xcb4>
	v_add_u32_e32 v3, v5, v3                                   // 000000002854: 68060705
	s_and_saveexec_b64 s[22:23], s[0:1]                        // 000000002858: BE962000
	s_cbranch_execz 2                                          // 00000000285C: BF880002 <_ZN5aiter11PrefillTopKL10topKPerRowILi1024ELi2048ELi2048ELi512EEEvPvPKfPKiS6_PiPfii+0xc68>
	ds_read_b32 v3, v18 offset:4100                            // 000000002860: D86C1004 03000012
	s_or_b64 exec, exec, s[22:23]                              // 000000002868: 87FE167E
	s_movk_i32 s0, 0x7ff                                       // 00000000286C: B00007FF
	s_waitcnt lgkmcnt(0)                                       // 000000002870: BF8CC07F
	v_cmp_lt_i32_e32 vcc, s0, v3                               // 000000002874: 7D820600
	v_mov_b32_e32 v1, 0                                        // 000000002878: 7E020280
	s_and_saveexec_b64 s[0:1], vcc                             // 00000000287C: BE80206A
	s_cbranch_execz 11                                         // 000000002880: BF88000B <_ZN5aiter11PrefillTopKL10topKPerRowILi1024ELi2048ELi2048ELi512EEEvPvPKfPKiS6_PiPfii+0xcb0>
	v_or_b32_e32 v1, 0x400, v6                                 // 000000002884: 28020CFF 00000400
	v_sub_u32_e32 v3, v3, v2                                   // 00000000288C: 6A060503
	v_mov_b32_e32 v5, 0                                        // 000000002890: 7E0A0280
	ds_write_b32 v5, v1 offset:12684                           // 000000002894: D81A318C 00000105
	v_mov_b32_e32 v1, 0x3184                                   // 00000000289C: 7E0202FF 00003184
	ds_write2_b32 v1, v3, v2 offset1:1                         // 0000000028A4: D81C0100 00020301
	v_mov_b32_e32 v1, 1                                        // 0000000028AC: 7E020281
	s_or_b64 exec, exec, s[0:1]                                // 0000000028B0: 87FE007E
	s_or_b64 exec, exec, s[20:21]                              // 0000000028B4: 87FE147E
	v_or_b32_dpp v1, v1, v1 row_shl:1 row_mask:0xf bank_mask:0xf bound_ctrl:1// 0000000028B8: 280202FA FF090101
	s_nop 1                                                    // 0000000028C0: BF800001
	v_or_b32_dpp v1, v1, v1 row_shl:2 row_mask:0xf bank_mask:0xf bound_ctrl:1// 0000000028C4: 280202FA FF090201
	s_nop 1                                                    // 0000000028CC: BF800001
	v_or_b32_dpp v1, v1, v1 row_shl:4 row_mask:0xf bank_mask:0xf bound_ctrl:1// 0000000028D0: 280202FA FF090401
	s_nop 1                                                    // 0000000028D8: BF800001
	v_or_b32_dpp v1, v1, v1 row_shl:8 row_mask:0xf bank_mask:0xf bound_ctrl:1// 0000000028DC: 280202FA FF090801
	s_nop 1                                                    // 0000000028E4: BF800001
	v_mov_b32_dpp v2, v1 wave_shl:1 row_mask:0xf bank_mask:0xf bound_ctrl:1// 0000000028E8: 7E0402FA FF093001
	s_nop 1                                                    // 0000000028F0: BF800001
	v_or_b32_dpp v1, v2, v1 row_mirror row_mask:0xf bank_mask:0xf bound_ctrl:1// 0000000028F4: 280202FA FF094002
	s_nop 0                                                    // 0000000028FC: BF800000
	v_readlane_b32 s0, v1, 32                                  // 000000002900: D2890000 00014101
	s_andn2_b64 vcc, exec, s[16:17]                            // 000000002908: 89EA107E
	v_readlane_b32 s1, v1, 0                                   // 00000000290C: D2890001 00010101
	s_cbranch_vccnz 41                                         // 000000002914: BF870029 <_ZN5aiter11PrefillTopKL10topKPerRowILi1024ELi2048ELi2048ELi512EEEvPvPKfPKiS6_PiPfii+0xdbc>
	s_bitcmp1_b32 exec_hi, 0                                   // 000000002918: BF0D807F
	s_cselect_b32 s0, s0, 0                                    // 00000000291C: 85008000
	s_or_b32 s16, s0, s1                                       // 000000002920: 87100100
	v_mbcnt_lo_u32_b32 v1, -1, 0                               // 000000002924: D28C0001 000100C1
	v_mbcnt_hi_u32_b32 v1, -1, v1                              // 00000000292C: D28D0001 000202C1
	v_or_b32_e32 v0, v1, v0                                    // 000000002934: 28000101
	v_cmp_eq_u32_e32 vcc, 0, v0                                // 000000002938: 7D940080
	s_and_saveexec_b64 s[0:1], vcc                             // 00000000293C: BE80206A
	s_cbranch_execz 4                                          // 000000002940: BF880004 <_ZN5aiter11PrefillTopKL10topKPerRowILi1024ELi2048ELi2048ELi512EEEvPvPKfPKiS6_PiPfii+0xd54>
	v_mov_b32_e32 v0, 0                                        // 000000002944: 7E000280
	v_mov_b32_e32 v2, s16                                      // 000000002948: 7E040210
	ds_write_b32 v0, v2 offset:12416                           // 00000000294C: D81A3080 00000200
	s_or_b64 exec, exec, s[0:1]                                // 000000002954: 87FE007E
	v_cmp_eq_u32_e32 vcc, 0, v1                                // 000000002958: 7D940280
	s_waitcnt lgkmcnt(0)                                       // 00000000295C: BF8CC07F
	s_barrier                                                  // 000000002960: BF8A0000
	s_and_b64 s[14:15], s[14:15], vcc                          // 000000002964: 868E6A0E
	s_and_saveexec_b64 s[0:1], s[14:15]                        // 000000002968: BE80200E
	s_cbranch_execz 11                                         // 00000000296C: BF88000B <_ZN5aiter11PrefillTopKL10topKPerRowILi1024ELi2048ELi2048ELi512EEEvPvPKfPKiS6_PiPfii+0xd9c>
	v_mbcnt_lo_u32_b32 v0, exec_lo, 0                          // 000000002970: D28C0000 0001007E
	v_mbcnt_hi_u32_b32 v0, exec_hi, v0                         // 000000002978: D28D0000 0002007F
	v_cmp_eq_u32_e32 vcc, 0, v0                                // 000000002980: 7D940080
	s_and_b64 exec, exec, vcc                                  // 000000002984: 86FE6A7E
	s_cbranch_execz 4                                          // 000000002988: BF880004 <_ZN5aiter11PrefillTopKL10topKPerRowILi1024ELi2048ELi2048ELi512EEEvPvPKfPKiS6_PiPfii+0xd9c>
	v_mov_b32_e32 v0, 0                                        // 00000000298C: 7E000280
	v_mov_b32_e32 v1, s16                                      // 000000002990: 7E020210
	ds_or_b32 v0, v1 offset:12416                              // 000000002994: D8143080 00000100
	s_or_b64 exec, exec, s[0:1]                                // 00000000299C: 87FE007E
	s_waitcnt lgkmcnt(0)                                       // 0000000029A0: BF8CC07F
	s_barrier                                                  // 0000000029A4: BF8A0000
	v_mov_b32_e32 v0, 0                                        // 0000000029A8: 7E000280
	ds_read_b32 v0, v0 offset:12416                            // 0000000029AC: D86C3080 00000000
	s_waitcnt lgkmcnt(0)                                       // 0000000029B4: BF8CC07F
	s_barrier                                                  // 0000000029B8: BF8A0000
	s_waitcnt lgkmcnt(0)                                       // 0000000029BC: BF8CC07F
	s_barrier                                                  // 0000000029C0: BF8A0000
	v_mov_b32_e32 v0, 0x3184                                   // 0000000029C4: 7E0002FF 00003184
	ds_read2_b32 v[0:1], v0 offset1:1                          // 0000000029CC: D86E0100 00000000
	v_mov_b32_e32 v2, 0                                        // 0000000029D4: 7E040280
	ds_read_b32 v19, v2 offset:12684                           // 0000000029D8: D86C318C 13000002
	s_waitcnt lgkmcnt(1)                                       // 0000000029E0: BF8CC17F
	v_readfirstlane_b32 s57, v0                                // 0000000029E4: 7E720500
	v_readfirstlane_b32 s56, v1                                // 0000000029E8: 7E700501
	s_sub_i32 s55, 0x800, s56                                  // 0000000029EC: 81B738FF 00000800
	s_cmp_lg_u32 s57, s55                                      // 0000000029F4: BF073739
	s_mov_b64 s[0:1], -1                                       // 0000000029F8: BE8001C1
	s_cbranch_scc0 1235                                        // 0000000029FC: BF8404D3 <_ZN5aiter11PrefillTopKL10topKPerRowILi1024ELi2048ELi2048ELi512EEEvPvPKfPKiS6_PiPfii+0x214c>
	s_cmpk_gt_i32 s57, 0x200                                   // 000000002A00: B2390200
	s_cbranch_scc0 978                                         // 000000002A04: BF8403D2 <_ZN5aiter11PrefillTopKL10topKPerRowILi1024ELi2048ELi2048ELi512EEEvPvPKfPKiS6_PiPfii+0x1d50>
	s_and_saveexec_b64 s[0:1], s[18:19]                        // 000000002A08: BE802012
	s_cbranch_execz 3                                          // 000000002A0C: BF880003 <_ZN5aiter11PrefillTopKL10topKPerRowILi1024ELi2048ELi2048ELi512EEEvPvPKfPKiS6_PiPfii+0xe1c>
	v_mov_b32_e32 v0, 0                                        // 000000002A10: 7E000280
	ds_write_b32 v18, v0 offset:8192                           // 000000002A14: D81A2000 00000012
	s_or_b64 exec, exec, s[0:1]                                // 000000002A1C: 87FE007E
	s_ashr_i32 s35, s34, 31                                    // 000000002A20: 90239F22
	s_lshl_b64 s[14:15], s[34:35], 3                           // 000000002A24: 8E8E8322
	s_add_u32 s16, s4, s14                                     // 000000002A28: 80100E04
	s_addc_u32 s17, s5, s15                                    // 000000002A2C: 82110F05
	s_waitcnt lgkmcnt(0)                                       // 000000002A30: BF8CC07F
	s_barrier                                                  // 000000002A34: BF8A0000
	s_and_saveexec_b64 s[20:21], s[24:25]                      // 000000002A38: BE942018
	s_cbranch_execz 438                                        // 000000002A3C: BF8801B6 <_ZN5aiter11PrefillTopKL10topKPerRowILi1024ELi2048ELi2048ELi512EEEvPvPKfPKiS6_PiPfii+0x1518>
	v_lshlrev_b32_e32 v8, 4, v6                                // 000000002A40: 24100C84
	v_mov_b32_e32 v9, 0                                        // 000000002A44: 7E120280
	s_lshl_b32 s0, s53, 2                                      // 000000002A48: 8E008235
	s_add_u32 s0, s6, s0                                       // 000000002A4C: 80000006
	s_addc_u32 s1, s7, 0                                       // 000000002A50: 82018007
	s_add_u32 s0, s0, s38                                      // 000000002A54: 80002600
	s_addc_u32 s1, s1, s39                                     // 000000002A58: 82012701
	s_add_u32 s0, s0, s40                                      // 000000002A5C: 80002800
	s_addc_u32 s1, s1, s41                                     // 000000002A60: 82012901
	v_lshl_add_u64 v[10:11], s[0:1], 0, v[8:9]                 // 000000002A64: D208000A 04210000
	v_lshl_add_u32 v5, v6, 2, s53                              // 000000002A6C: D1FD0005 00D50506
	s_mov_b64 s[22:23], 0                                      // 000000002A74: BE960180
	s_mov_b64 s[26:27], src_shared_base                        // 000000002A78: BE9A01EB
	s_movk_i32 s26, 0x800                                      // 000000002A7C: B01A0800
	v_mov_b32_e32 v7, 1                                        // 000000002A80: 7E0E0281
	s_mov_b64 s[28:29], 0x4000                                 // 000000002A84: BE9C01FF 00004000
	v_mov_b32_e32 v12, 0x3180                                  // 000000002A8C: 7E1802FF 00003180
	v_mov_b32_e32 v8, 2                                        // 000000002A94: 7E100282
	v_mov_b32_e32 v20, v6                                      // 000000002A98: 7E280306
	s_branch 11                                                // 000000002A9C: BF82000B <_ZN5aiter11PrefillTopKL10topKPerRowILi1024ELi2048ELi2048ELi512EEEvPvPKfPKiS6_PiPfii+0xecc>
	s_or_b64 exec, exec, s[0:1]                                // 000000002AA0: 87FE007E
	v_add_u32_e32 v20, 0x400, v20                              // 000000002AA4: 682828FF 00000400
	v_lshl_add_u64 v[10:11], v[10:11], 0, s[28:29]             // 000000002AAC: D208000A 0071010A
	v_cmp_le_u32_e32 vcc, s52, v20                             // 000000002AB4: 7D962834
	s_or_b64 s[22:23], vcc, s[22:23]                           // 000000002AB8: 8796166A
	v_add_u32_e32 v5, 0x1000, v5                               // 000000002ABC: 680A0AFF 00001000
	s_andn2_b64 exec, exec, s[22:23]                           // 000000002AC4: 89FE167E
	s_cbranch_execz 403                                        // 000000002AC8: BF880193 <_ZN5aiter11PrefillTopKL10topKPerRowILi1024ELi2048ELi2048ELi512EEEvPvPKfPKiS6_PiPfii+0x1518>
	global_load_dwordx4 v[0:3], v[10:11], off                  // 000000002ACC: DC5C8000 007F000A
	s_waitcnt vmcnt(0)                                         // 000000002AD4: BF8C0F70
	v_cvt_f16_f32_e32 v17, v0                                  // 000000002AD8: 7E221500
	v_and_b32_e32 v13, 0x7fff, v17                             // 000000002ADC: 261A22FF 00007FFF
	v_xor_b32_e32 v13, 0x7fe0, v13                             // 000000002AE4: 2A1A1AFF 00007FE0
	v_cmp_gt_f32_e32 vcc, 0, v0                                // 000000002AEC: 7C880080
	s_nop 1                                                    // 000000002AF0: BF800001
	v_cndmask_b32_e32 v13, v13, v17, vcc                       // 000000002AF4: 001A230D
	v_lshrrev_b16_e32 v13, 5, v13                              // 000000002AF8: 561A1A85
	v_cmp_le_i32_e64 s[0:1], v19, v13                          // 000000002AFC: D0C30000 00021B13
	s_mov_b64 s[42:43], 0                                      // 000000002B04: BEAA0180
	s_and_saveexec_b64 s[30:31], s[0:1]                        // 000000002B08: BE9E2000
	s_xor_b64 s[30:31], exec, s[30:31]                         // 000000002B0C: 889E1E7E
	s_cbranch_execz 322                                        // 000000002B10: BF880142 <_ZN5aiter11PrefillTopKL10topKPerRowILi1024ELi2048ELi2048ELi512EEEvPvPKfPKiS6_PiPfii+0x141c>
	v_cmp_eq_u32_e64 s[0:1], v19, v13                          // 000000002B14: D0CA0000 00021B13
	s_mov_b64 s[44:45], 0                                      // 000000002B1C: BEAC0180
	s_and_saveexec_b64 s[42:43], s[0:1]                        // 000000002B20: BEAA2000
	s_cbranch_execz 55                                         // 000000002B24: BF880037 <_ZN5aiter11PrefillTopKL10topKPerRowILi1024ELi2048ELi2048ELi512EEEvPvPKfPKiS6_PiPfii+0x1004>
	v_mov_b32_e32 v13, s27                                     // 000000002B28: 7E1A021B
	flat_load_dword v13, v[12:13] sc0 sc1                      // 000000002B2C: DE510000 0D00000C
	s_waitcnt vmcnt(0) lgkmcnt(0)                              // 000000002B34: BF8C0070
	v_cmp_gt_i32_e64 s[0:1], s26, v13                          // 000000002B38: D0C40000 00021A1A
	s_mov_b64 s[46:47], 0                                      // 000000002B40: BEAE0180
	s_and_saveexec_b64 s[44:45], s[0:1]                        // 000000002B44: BEAC2000
	s_cbranch_execz 44                                         // 000000002B48: BF88002C <_ZN5aiter11PrefillTopKL10topKPerRowILi1024ELi2048ELi2048ELi512EEEvPvPKfPKiS6_PiPfii+0xffc>
	s_mov_b64 s[48:49], exec                                   // 000000002B4C: BEB0017E
	v_mbcnt_lo_u32_b32 v13, s48, 0                             // 000000002B50: D28C000D 00010030
	v_mbcnt_hi_u32_b32 v13, s49, v13                           // 000000002B58: D28D000D 00021A31
	v_cmp_eq_u32_e64 s[0:1], 0, v13                            // 000000002B60: D0CA0000 00021A80
	s_and_saveexec_b64 s[46:47], s[0:1]                        // 000000002B68: BEAE2000
	s_cbranch_execz 4                                          // 000000002B6C: BF880004 <_ZN5aiter11PrefillTopKL10topKPerRowILi1024ELi2048ELi2048ELi512EEEvPvPKfPKiS6_PiPfii+0xf80>
	s_bcnt1_i32_b64 s0, s[48:49]                               // 000000002B70: BE800D30
	v_mov_b32_e32 v14, s0                                      // 000000002B74: 7E1C0200
	ds_add_rtn_u32 v14, v9, v14 offset:12672                   // 000000002B78: D8403180 0E000E09
	s_or_b64 exec, exec, s[46:47]                              // 000000002B80: 87FE2E7E
	s_waitcnt lgkmcnt(0)                                       // 000000002B84: BF8CC07F
	v_readfirstlane_b32 s0, v14                                // 000000002B88: 7E00050E
	s_nop 1                                                    // 000000002B8C: BF800001
	v_add_u32_e32 v16, s0, v13                                 // 000000002B90: 68201A00
	v_cmp_gt_i32_e64 s[0:1], s26, v16                          // 000000002B94: D0C40000 0002201A
	s_mov_b64 s[46:47], 0                                      // 000000002B9C: BEAE0180
	s_and_saveexec_b64 s[48:49], s[0:1]                        // 000000002BA0: BEB02000
	s_xor_b64 s[0:1], exec, s[48:49]                           // 000000002BA4: 8880307E
	s_cbranch_execz 18                                         // 000000002BA8: BF880012 <_ZN5aiter11PrefillTopKL10topKPerRowILi1024ELi2048ELi2048ELi512EEEvPvPKfPKiS6_PiPfii+0xff4>
	s_mov_b64 s[46:47], exec                                   // 000000002BAC: BEAE017E
	v_xor_b32_e32 v13, -1, v17                                 // 000000002BB0: 2A1A22C1
	v_or_b32_e32 v14, 0x8000, v17                              // 000000002BB4: 281C22FF 00008000
	v_cndmask_b32_e32 v13, v14, v13, vcc                       // 000000002BBC: 001A1B0E
	v_xor_b32_e32 v13, -1, v13                                 // 000000002BC0: 2A1A1AC1
	v_and_b32_e32 v13, 31, v13                                 // 000000002BC4: 261A1A9F
	v_lshlrev_b32_sdwa v13, v8, v13 dst_sel:DWORD dst_unused:UNUSED_PAD src0_sel:DWORD src1_sel:WORD_0// 000000002BC8: 241A1AF9 04060608
	ds_add_u32 v13, v7 offset:8192                             // 000000002BD0: D8002000 0000070D
	v_ashrrev_i32_e32 v17, 31, v16                             // 000000002BD8: 2222209F
	v_lshl_add_u64 v[14:15], v[16:17], 3, s[16:17]             // 000000002BDC: D208000E 00410710
	global_store_dword v[14:15], v0, off                       // 000000002BE4: DC708000 007F000E
	v_lshl_add_u64 v[14:15], v[14:15], 0, 4                    // 000000002BEC: D208000E 0211010E
	s_or_b64 exec, exec, s[0:1]                                // 000000002BF4: 87FE007E
	s_and_b64 s[46:47], s[46:47], exec                         // 000000002BF8: 86AE7E2E
	s_or_b64 exec, exec, s[44:45]                              // 000000002BFC: 87FE2C7E
	s_and_b64 s[44:45], s[46:47], exec                         // 000000002C00: 86AC7E2E
	s_or_b64 exec, exec, s[42:43]                              // 000000002C04: 87FE2A7E
	s_and_b64 s[42:43], s[44:45], exec                         // 000000002C08: 86AA7E2C
	s_andn2_saveexec_b64 s[0:1], s[30:31]                      // 000000002C0C: BE80231E
	s_cbranch_execnz 260                                       // 000000002C10: BF890104 <_ZN5aiter11PrefillTopKL10topKPerRowILi1024ELi2048ELi2048ELi512EEEvPvPKfPKiS6_PiPfii+0x1424>
	s_or_b64 exec, exec, s[0:1]                                // 000000002C14: 87FE007E
	s_and_saveexec_b64 s[0:1], s[42:43]                        // 000000002C18: BE80202A
	s_cbranch_execz 2                                          // 000000002C1C: BF880002 <_ZN5aiter11PrefillTopKL10topKPerRowILi1024ELi2048ELi2048ELi512EEEvPvPKfPKiS6_PiPfii+0x1028>
	global_store_dword v[14:15], v5, off                       // 000000002C20: DC708000 007F050E
	s_or_b64 exec, exec, s[0:1]                                // 000000002C28: 87FE007E
	v_cvt_f16_f32_e32 v0, v1                                   // 000000002C2C: 7E001501
	v_and_b32_e32 v13, 0x7fff, v0                              // 000000002C30: 261A00FF 00007FFF
	v_xor_b32_e32 v13, 0x7fe0, v13                             // 000000002C38: 2A1A1AFF 00007FE0
	v_cmp_gt_f32_e32 vcc, 0, v1                                // 000000002C40: 7C880280
	s_nop 1                                                    // 000000002C44: BF800001
	v_cndmask_b32_e32 v13, v13, v0, vcc                        // 000000002C48: 001A010D
	v_lshrrev_b16_e32 v13, 5, v13                              // 000000002C4C: 561A1A85
	v_cmp_le_i32_e64 s[0:1], v19, v13                          // 000000002C50: D0C30000 00021B13
	s_mov_b64 s[42:43], 0                                      // 000000002C58: BEAA0180
	s_and_saveexec_b64 s[30:31], s[0:1]                        // 000000002C5C: BE9E2000
	s_xor_b64 s[30:31], exec, s[30:31]                         // 000000002C60: 889E1E7E
	s_cbranch_execz 252                                        // 000000002C64: BF8800FC <_ZN5aiter11PrefillTopKL10topKPerRowILi1024ELi2048ELi2048ELi512EEEvPvPKfPKiS6_PiPfii+0x1458>
	v_cmp_eq_u32_e64 s[0:1], v19, v13                          // 000000002C68: D0CA0000 00021B13
	s_mov_b64 s[44:45], 0                                      // 000000002C70: BEAC0180
	s_and_saveexec_b64 s[42:43], s[0:1]                        // 000000002C74: BEAA2000
	s_cbranch_execz 54                                         // 000000002C78: BF880036 <_ZN5aiter11PrefillTopKL10topKPerRowILi1024ELi2048ELi2048ELi512EEEvPvPKfPKiS6_PiPfii+0x1154>
	v_mov_b32_e32 v13, s27                                     // 000000002C7C: 7E1A021B
	flat_load_dword v13, v[12:13] sc0 sc1                      // 000000002C80: DE510000 0D00000C
	s_waitcnt vmcnt(0) lgkmcnt(0)                              // 000000002C88: BF8C0070
	v_cmp_gt_i32_e64 s[0:1], s26, v13                          // 000000002C8C: D0C40000 00021A1A
	s_mov_b64 s[46:47], 0                                      // 000000002C94: BEAE0180
	s_and_saveexec_b64 s[44:45], s[0:1]                        // 000000002C98: BEAC2000
	s_cbranch_execz 43                                         // 000000002C9C: BF88002B <_ZN5aiter11PrefillTopKL10topKPerRowILi1024ELi2048ELi2048ELi512EEEvPvPKfPKiS6_PiPfii+0x114c>
	s_mov_b64 s[48:49], exec                                   // 000000002CA0: BEB0017E
	v_mbcnt_lo_u32_b32 v13, s48, 0                             // 000000002CA4: D28C000D 00010030
	v_mbcnt_hi_u32_b32 v13, s49, v13                           // 000000002CAC: D28D000D 00021A31
	v_cmp_eq_u32_e64 s[0:1], 0, v13                            // 000000002CB4: D0CA0000 00021A80
	s_and_saveexec_b64 s[46:47], s[0:1]                        // 000000002CBC: BEAE2000
	s_cbranch_execz 4                                          // 000000002CC0: BF880004 <_ZN5aiter11PrefillTopKL10topKPerRowILi1024ELi2048ELi2048ELi512EEEvPvPKfPKiS6_PiPfii+0x10d4>
	s_bcnt1_i32_b64 s0, s[48:49]                               // 000000002CC4: BE800D30
	v_mov_b32_e32 v14, s0                                      // 000000002CC8: 7E1C0200
	ds_add_rtn_u32 v14, v9, v14 offset:12672                   // 000000002CCC: D8403180 0E000E09
	s_or_b64 exec, exec, s[46:47]                              // 000000002CD4: 87FE2E7E
	s_waitcnt lgkmcnt(0)                                       // 000000002CD8: BF8CC07F
	v_readfirstlane_b32 s0, v14                                // 000000002CDC: 7E00050E
	s_nop 1                                                    // 000000002CE0: BF800001
	v_add_u32_e32 v16, s0, v13                                 // 000000002CE4: 68201A00
	v_cmp_gt_i32_e64 s[0:1], s26, v16                          // 000000002CE8: D0C40000 0002201A
	s_mov_b64 s[46:47], 0                                      // 000000002CF0: BEAE0180
	s_and_saveexec_b64 s[48:49], s[0:1]                        // 000000002CF4: BEB02000
	s_cbranch_execz 18                                         // 000000002CF8: BF880012 <_ZN5aiter11PrefillTopKL10topKPerRowILi1024ELi2048ELi2048ELi512EEEvPvPKfPKiS6_PiPfii+0x1144>
	s_mov_b64 s[46:47], exec                                   // 000000002CFC: BEAE017E
	v_xor_b32_e32 v13, -1, v0                                  // 000000002D00: 2A1A00C1
	v_or_b32_e32 v0, 0x8000, v0                                // 000000002D04: 280000FF 00008000
	v_cndmask_b32_e32 v0, v0, v13, vcc                         // 000000002D0C: 00001B00
	v_xor_b32_e32 v0, -1, v0                                   // 000000002D10: 2A0000C1
	v_and_b32_e32 v0, 31, v0                                   // 000000002D14: 2600009F
	v_lshlrev_b32_sdwa v0, v8, v0 dst_sel:DWORD dst_unused:UNUSED_PAD src0_sel:DWORD src1_sel:WORD_0// 000000002D18: 240000F9 04060608
	ds_add_u32 v0, v7 offset:8192                              // 000000002D20: D8002000 00000700
	v_ashrrev_i32_e32 v17, 31, v16                             // 000000002D28: 2222209F
	v_lshl_add_u64 v[14:15], v[16:17], 3, s[16:17]             // 000000002D2C: D208000E 00410710
	global_store_dword v[14:15], v1, off                       // 000000002D34: DC708000 007F010E
	v_lshl_add_u64 v[14:15], v[14:15], 0, 4                    // 000000002D3C: D208000E 0211010E
	s_or_b64 exec, exec, s[48:49]                              // 000000002D44: 87FE307E
	s_and_b64 s[46:47], s[46:47], exec                         // 000000002D48: 86AE7E2E
	s_or_b64 exec, exec, s[44:45]                              // 000000002D4C: 87FE2C7E
	s_and_b64 s[44:45], s[46:47], exec                         // 000000002D50: 86AC7E2E
	s_or_b64 exec, exec, s[42:43]                              // 000000002D54: 87FE2A7E
	s_and_b64 s[42:43], s[44:45], exec                         // 000000002D58: 86AA7E2C
	s_andn2_saveexec_b64 s[0:1], s[30:31]                      // 000000002D5C: BE80231E
	s_cbranch_execnz 191                                       // 000000002D60: BF8900BF <_ZN5aiter11PrefillTopKL10topKPerRowILi1024ELi2048ELi2048ELi512EEEvPvPKfPKiS6_PiPfii+0x1460>
	s_or_b64 exec, exec, s[0:1]                                // 000000002D64: 87FE007E
	s_and_saveexec_b64 s[0:1], s[42:43]                        // 000000002D68: BE80202A
	s_cbranch_execz 3                                          // 000000002D6C: BF880003 <_ZN5aiter11PrefillTopKL10topKPerRowILi1024ELi2048ELi2048ELi512EEEvPvPKfPKiS6_PiPfii+0x117c>
	v_add_u32_e32 v0, 1, v5                                    // 000000002D70: 68000A81
	global_store_dword v[14:15], v0, off                       // 000000002D74: DC708000 007F000E
	s_or_b64 exec, exec, s[0:1]                                // 000000002D7C: 87FE007E
	v_cvt_f16_f32_e32 v15, v2                                  // 000000002D80: 7E1E1502
	v_and_b32_e32 v0, 0x7fff, v15                              // 000000002D84: 26001EFF 00007FFF
	v_xor_b32_e32 v0, 0x7fe0, v0                               // 000000002D8C: 2A0000FF 00007FE0
	v_cmp_gt_f32_e32 vcc, 0, v2                                // 000000002D94: 7C880480
	s_nop 1                                                    // 000000002D98: BF800001
	v_cndmask_b32_e32 v0, v0, v15, vcc                         // 000000002D9C: 00001F00
	v_lshrrev_b16_e32 v13, 5, v0                               // 000000002DA0: 561A0085
	v_cmp_le_i32_e64 s[0:1], v19, v13                          // 000000002DA4: D0C30000 00021B13
	s_mov_b64 s[42:43], 0                                      // 000000002DAC: BEAA0180
	s_and_saveexec_b64 s[30:31], s[0:1]                        // 000000002DB0: BE9E2000
	s_xor_b64 s[30:31], exec, s[30:31]                         // 000000002DB4: 889E1E7E
	s_cbranch_execz 182                                        // 000000002DB8: BF8800B6 <_ZN5aiter11PrefillTopKL10topKPerRowILi1024ELi2048ELi2048ELi512EEEvPvPKfPKiS6_PiPfii+0x1494>
	v_cmp_eq_u32_e64 s[0:1], v19, v13                          // 000000002DBC: D0CA0000 00021B13
	s_mov_b64 s[44:45], 0                                      // 000000002DC4: BEAC0180
	s_and_saveexec_b64 s[42:43], s[0:1]                        // 000000002DC8: BEAA2000
	s_cbranch_execz 54                                         // 000000002DCC: BF880036 <_ZN5aiter11PrefillTopKL10topKPerRowILi1024ELi2048ELi2048ELi512EEEvPvPKfPKiS6_PiPfii+0x12a8>
	v_mov_b32_e32 v13, s27                                     // 000000002DD0: 7E1A021B
	flat_load_dword v0, v[12:13] sc0 sc1                       // 000000002DD4: DE510000 0000000C
	s_waitcnt vmcnt(0) lgkmcnt(0)                              // 000000002DDC: BF8C0070
	v_cmp_gt_i32_e64 s[0:1], s26, v0                           // 000000002DE0: D0C40000 0002001A
	s_mov_b64 s[46:47], 0                                      // 000000002DE8: BEAE0180
	s_and_saveexec_b64 s[44:45], s[0:1]                        // 000000002DEC: BEAC2000
	s_cbranch_execz 43                                         // 000000002DF0: BF88002B <_ZN5aiter11PrefillTopKL10topKPerRowILi1024ELi2048ELi2048ELi512EEEvPvPKfPKiS6_PiPfii+0x12a0>
	s_mov_b64 s[48:49], exec                                   // 000000002DF4: BEB0017E
	v_mbcnt_lo_u32_b32 v0, s48, 0                              // 000000002DF8: D28C0000 00010030
	v_mbcnt_hi_u32_b32 v0, s49, v0                             // 000000002E00: D28D0000 00020031
	v_cmp_eq_u32_e64 s[0:1], 0, v0                             // 000000002E08: D0CA0000 00020080
	s_and_saveexec_b64 s[46:47], s[0:1]                        // 000000002E10: BEAE2000
	s_cbranch_execz 4                                          // 000000002E14: BF880004 <_ZN5aiter11PrefillTopKL10topKPerRowILi1024ELi2048ELi2048ELi512EEEvPvPKfPKiS6_PiPfii+0x1228>
	s_bcnt1_i32_b64 s0, s[48:49]                               // 000000002E18: BE800D30
	v_mov_b32_e32 v1, s0                                       // 000000002E1C: 7E020200
	ds_add_rtn_u32 v1, v9, v1 offset:12672                     // 000000002E20: D8403180 01000109
	s_or_b64 exec, exec, s[46:47]                              // 000000002E28: 87FE2E7E
	s_waitcnt lgkmcnt(0)                                       // 000000002E2C: BF8CC07F
	v_readfirstlane_b32 s0, v1                                 // 000000002E30: 7E000501
	s_nop 1                                                    // 000000002E34: BF800001
	v_add_u32_e32 v14, s0, v0                                  // 000000002E38: 681C0000
	v_cmp_gt_i32_e64 s[0:1], s26, v14                          // 000000002E3C: D0C40000 00021C1A
	s_mov_b64 s[46:47], 0                                      // 000000002E44: BEAE0180
	s_and_saveexec_b64 s[48:49], s[0:1]                        // 000000002E48: BEB02000
	s_cbranch_execz 18                                         // 000000002E4C: BF880012 <_ZN5aiter11PrefillTopKL10topKPerRowILi1024ELi2048ELi2048ELi512EEEvPvPKfPKiS6_PiPfii+0x1298>
	s_mov_b64 s[46:47], exec                                   // 000000002E50: BEAE017E
	v_xor_b32_e32 v0, -1, v15                                  // 000000002E54: 2A001EC1
	v_or_b32_e32 v1, 0x8000, v15                               // 000000002E58: 28021EFF 00008000
	v_cndmask_b32_e32 v0, v1, v0, vcc                          // 000000002E60: 00000101
	v_xor_b32_e32 v0, -1, v0                                   // 000000002E64: 2A0000C1
	v_and_b32_e32 v0, 31, v0                                   // 000000002E68: 2600009F
	v_lshlrev_b32_sdwa v0, v8, v0 dst_sel:DWORD dst_unused:UNUSED_PAD src0_sel:DWORD src1_sel:WORD_0// 000000002E6C: 240000F9 04060608
	ds_add_u32 v0, v7 offset:8192                              // 000000002E74: D8002000 00000700
	v_ashrrev_i32_e32 v15, 31, v14                             // 000000002E7C: 221E1C9F
	v_lshl_add_u64 v[0:1], v[14:15], 3, s[16:17]               // 000000002E80: D2080000 0041070E
	global_store_dword v[0:1], v2, off                         // 000000002E88: DC708000 007F0200
	v_lshl_add_u64 v[0:1], v[0:1], 0, 4                        // 000000002E90: D2080000 02110100
	s_or_b64 exec, exec, s[48:49]                              // 000000002E98: 87FE307E
	s_and_b64 s[46:47], s[46:47], exec                         // 000000002E9C: 86AE7E2E
	s_or_b64 exec, exec, s[44:45]                              // 000000002EA0: 87FE2C7E
	s_and_b64 s[44:45], s[46:47], exec                         // 000000002EA4: 86AC7E2E
	s_or_b64 exec, exec, s[42:43]                              // 000000002EA8: 87FE2A7E
	s_and_b64 s[42:43], s[44:45], exec                         // 000000002EAC: 86AA7E2C
	s_andn2_saveexec_b64 s[0:1], s[30:31]                      // 000000002EB0: BE80231E
	s_cbranch_execnz 121                                       // 000000002EB4: BF890079 <_ZN5aiter11PrefillTopKL10topKPerRowILi1024ELi2048ELi2048ELi512EEEvPvPKfPKiS6_PiPfii+0x149c>
	s_or_b64 exec, exec, s[0:1]                                // 000000002EB8: 87FE007E
	s_and_saveexec_b64 s[0:1], s[42:43]                        // 000000002EBC: BE80202A
	s_cbranch_execz 3                                          // 000000002EC0: BF880003 <_ZN5aiter11PrefillTopKL10topKPerRowILi1024ELi2048ELi2048ELi512EEEvPvPKfPKiS6_PiPfii+0x12d0>
	v_add_u32_e32 v2, 2, v5                                    // 000000002EC4: 68040A82
	global_store_dword v[0:1], v2, off                         // 000000002EC8: DC708000 007F0200
	s_or_b64 exec, exec, s[0:1]                                // 000000002ED0: 87FE007E
	v_cvt_f16_f32_e32 v2, v3                                   // 000000002ED4: 7E041503
	v_and_b32_e32 v0, 0x7fff, v2                               // 000000002ED8: 260004FF 00007FFF
	v_xor_b32_e32 v0, 0x7fe0, v0                               // 000000002EE0: 2A0000FF 00007FE0
	v_cmp_gt_f32_e32 vcc, 0, v3                                // 000000002EE8: 7C880680
	s_nop 1                                                    // 000000002EEC: BF800001
	v_cndmask_b32_e32 v0, v0, v2, vcc                          // 000000002EF0: 00000500
	v_lshrrev_b16_e32 v13, 5, v0                               // 000000002EF4: 561A0085
	v_cmp_le_i32_e64 s[0:1], v19, v13                          // 000000002EF8: D0C30000 00021B13
	s_mov_b64 s[42:43], 0                                      // 000000002F00: BEAA0180
	s_and_saveexec_b64 s[30:31], s[0:1]                        // 000000002F04: BE9E2000
	s_xor_b64 s[30:31], exec, s[30:31]                         // 000000002F08: 889E1E7E
	s_cbranch_execz 112                                        // 000000002F0C: BF880070 <_ZN5aiter11PrefillTopKL10topKPerRowILi1024ELi2048ELi2048ELi512EEEvPvPKfPKiS6_PiPfii+0x14d0>
	v_cmp_eq_u32_e64 s[0:1], v19, v13                          // 000000002F10: D0CA0000 00021B13
	s_mov_b64 s[44:45], 0                                      // 000000002F18: BEAC0180
	s_and_saveexec_b64 s[42:43], s[0:1]                        // 000000002F1C: BEAA2000
	s_cbranch_execz 54                                         // 000000002F20: BF880036 <_ZN5aiter11PrefillTopKL10topKPerRowILi1024ELi2048ELi2048ELi512EEEvPvPKfPKiS6_PiPfii+0x13fc>
	v_mov_b32_e32 v13, s27                                     // 000000002F24: 7E1A021B
	flat_load_dword v0, v[12:13] sc0 sc1                       // 000000002F28: DE510000 0000000C
	s_waitcnt vmcnt(0) lgkmcnt(0)                              // 000000002F30: BF8C0070
	v_cmp_gt_i32_e64 s[0:1], s26, v0                           // 000000002F34: D0C40000 0002001A
	s_mov_b64 s[46:47], 0                                      // 000000002F3C: BEAE0180
	s_and_saveexec_b64 s[44:45], s[0:1]                        // 000000002F40: BEAC2000
	s_cbranch_execz 43                                         // 000000002F44: BF88002B <_ZN5aiter11PrefillTopKL10topKPerRowILi1024ELi2048ELi2048ELi512EEEvPvPKfPKiS6_PiPfii+0x13f4>
	s_mov_b64 s[48:49], exec                                   // 000000002F48: BEB0017E
	v_mbcnt_lo_u32_b32 v0, s48, 0                              // 000000002F4C: D28C0000 00010030
	v_mbcnt_hi_u32_b32 v0, s49, v0                             // 000000002F54: D28D0000 00020031
	v_cmp_eq_u32_e64 s[0:1], 0, v0                             // 000000002F5C: D0CA0000 00020080
	s_and_saveexec_b64 s[46:47], s[0:1]                        // 000000002F64: BEAE2000
	s_cbranch_execz 4                                          // 000000002F68: BF880004 <_ZN5aiter11PrefillTopKL10topKPerRowILi1024ELi2048ELi2048ELi512EEEvPvPKfPKiS6_PiPfii+0x137c>
	s_bcnt1_i32_b64 s0, s[48:49]                               // 000000002F6C: BE800D30
	v_mov_b32_e32 v1, s0                                       // 000000002F70: 7E020200
	ds_add_rtn_u32 v1, v9, v1 offset:12672                     // 000000002F74: D8403180 01000109
	s_or_b64 exec, exec, s[46:47]                              // 000000002F7C: 87FE2E7E
	s_waitcnt lgkmcnt(0)                                       // 000000002F80: BF8CC07F
	v_readfirstlane_b32 s0, v1                                 // 000000002F84: 7E000501
	s_nop 1                                                    // 000000002F88: BF800001
	v_add_u32_e32 v14, s0, v0                                  // 000000002F8C: 681C0000
	v_cmp_gt_i32_e64 s[0:1], s26, v14                          // 000000002F90: D0C40000 00021C1A
	s_mov_b64 s[46:47], 0                                      // 000000002F98: BEAE0180
	s_and_saveexec_b64 s[48:49], s[0:1]                        // 000000002F9C: BEB02000
	s_cbranch_execz 18                                         // 000000002FA0: BF880012 <_ZN5aiter11PrefillTopKL10topKPerRowILi1024ELi2048ELi2048ELi512EEEvPvPKfPKiS6_PiPfii+0x13ec>
	s_mov_b64 s[46:47], exec                                   // 000000002FA4: BEAE017E
	v_xor_b32_e32 v0, -1, v2                                   // 000000002FA8: 2A0004C1
	v_or_b32_e32 v1, 0x8000, v2                                // 000000002FAC: 280204FF 00008000
	v_cndmask_b32_e32 v0, v1, v0, vcc                          // 000000002FB4: 00000101
	v_xor_b32_e32 v0, -1, v0                                   // 000000002FB8: 2A0000C1
	v_and_b32_e32 v0, 31, v0                                   // 000000002FBC: 2600009F
	v_lshlrev_b32_sdwa v0, v8, v0 dst_sel:DWORD dst_unused:UNUSED_PAD src0_sel:DWORD src1_sel:WORD_0// 000000002FC0: 240000F9 04060608
	ds_add_u32 v0, v7 offset:8192                              // 000000002FC8: D8002000 00000700
	v_ashrrev_i32_e32 v15, 31, v14                             // 000000002FD0: 221E1C9F
	v_lshl_add_u64 v[0:1], v[14:15], 3, s[16:17]               // 000000002FD4: D2080000 0041070E
	global_store_dword v[0:1], v3, off                         // 000000002FDC: DC708000 007F0300
	v_lshl_add_u64 v[0:1], v[0:1], 0, 4                        // 000000002FE4: D2080000 02110100
	s_or_b64 exec, exec, s[48:49]                              // 000000002FEC: 87FE307E
	s_and_b64 s[46:47], s[46:47], exec                         // 000000002FF0: 86AE7E2E
	s_or_b64 exec, exec, s[44:45]                              // 000000002FF4: 87FE2C7E
	s_and_b64 s[44:45], s[46:47], exec                         // 000000002FF8: 86AC7E2E
	s_or_b64 exec, exec, s[42:43]                              // 000000002FFC: 87FE2A7E
	s_and_b64 s[42:43], s[44:45], exec                         // 000000003000: 86AA7E2C
	s_andn2_saveexec_b64 s[0:1], s[30:31]                      // 000000003004: BE80231E
	s_cbranch_execnz 51                                        // 000000003008: BF890033 <_ZN5aiter11PrefillTopKL10topKPerRowILi1024ELi2048ELi2048ELi512EEEvPvPKfPKiS6_PiPfii+0x14d8>
	s_or_b64 exec, exec, s[0:1]                                // 00000000300C: 87FE007E
	s_and_saveexec_b64 s[0:1], s[42:43]                        // 000000003010: BE80202A
	s_cbranch_execz 65186                                      // 000000003014: BF88FEA2 <_ZN5aiter11PrefillTopKL10topKPerRowILi1024ELi2048ELi2048ELi512EEEvPvPKfPKiS6_PiPfii+0xea0>
	s_branch 59                                                // 000000003018: BF82003B <_ZN5aiter11PrefillTopKL10topKPerRowILi1024ELi2048ELi2048ELi512EEEvPvPKfPKiS6_PiPfii+0x1508>
	s_andn2_saveexec_b64 s[0:1], s[30:31]                      // 00000000301C: BE80231E
	s_cbranch_execz 65276                                      // 000000003020: BF88FEFC <_ZN5aiter11PrefillTopKL10topKPerRowILi1024ELi2048ELi2048ELi512EEEvPvPKfPKiS6_PiPfii+0x1014>
	v_lshlrev_b32_e32 v0, 2, v13                               // 000000003024: 24001A82
	ds_add_rtn_u32 v0, v0, v7                                  // 000000003028: D8400000 00000700
	s_waitcnt lgkmcnt(0)                                       // 000000003030: BF8CC07F
	v_add_u32_e32 v14, s34, v0                                 // 000000003034: 681C0022
	v_ashrrev_i32_e32 v15, 31, v14                             // 000000003038: 221E1C9F
	v_lshl_add_u64 v[14:15], v[14:15], 2, s[12:13]             // 00000000303C: D208000E 0031050E
	s_or_b64 s[42:43], s[42:43], exec                          // 000000003044: 87AA7E2A
	s_or_b64 exec, exec, s[0:1]                                // 000000003048: 87FE007E
	s_and_saveexec_b64 s[0:1], s[42:43]                        // 00000000304C: BE80202A
	s_cbranch_execnz 65267                                     // 000000003050: BF89FEF3 <_ZN5aiter11PrefillTopKL10topKPerRowILi1024ELi2048ELi2048ELi512EEEvPvPKfPKiS6_PiPfii+0x1020>
	s_branch 65268                                             // 000000003054: BF82FEF4 <_ZN5aiter11PrefillTopKL10topKPerRowILi1024ELi2048ELi2048ELi512EEEvPvPKfPKiS6_PiPfii+0x1028>
	s_andn2_saveexec_b64 s[0:1], s[30:31]                      // 000000003058: BE80231E
	s_cbranch_execz 65345                                      // 00000000305C: BF88FF41 <_ZN5aiter11PrefillTopKL10topKPerRowILi1024ELi2048ELi2048ELi512EEEvPvPKfPKiS6_PiPfii+0x1164>
	v_lshlrev_b32_e32 v0, 2, v13                               // 000000003060: 24001A82
	ds_add_rtn_u32 v0, v0, v7                                  // 000000003064: D8400000 00000700
	s_waitcnt lgkmcnt(0)                                       // 00000000306C: BF8CC07F
	v_add_u32_e32 v0, s34, v0                                  // 000000003070: 68000022
	v_ashrrev_i32_e32 v1, 31, v0                               // 000000003074: 2202009F
	v_lshl_add_u64 v[14:15], v[0:1], 2, s[12:13]               // 000000003078: D208000E 00310500
	s_or_b64 s[42:43], s[42:43], exec                          // 000000003080: 87AA7E2A
	s_or_b64 exec, exec, s[0:1]                                // 000000003084: 87FE007E
	s_and_saveexec_b64 s[0:1], s[42:43]                        // 000000003088: BE80202A
	s_cbranch_execnz 65336                                     // 00000000308C: BF89FF38 <_ZN5aiter11PrefillTopKL10topKPerRowILi1024ELi2048ELi2048ELi512EEEvPvPKfPKiS6_PiPfii+0x1170>
	s_branch 65338                                             // 000000003090: BF82FF3A <_ZN5aiter11PrefillTopKL10topKPerRowILi1024ELi2048ELi2048ELi512EEEvPvPKfPKiS6_PiPfii+0x117c>
	s_andn2_saveexec_b64 s[0:1], s[30:31]                      // 000000003094: BE80231E
	s_cbranch_execz 65415                                      // 000000003098: BF88FF87 <_ZN5aiter11PrefillTopKL10topKPerRowILi1024ELi2048ELi2048ELi512EEEvPvPKfPKiS6_PiPfii+0x12b8>
	v_lshlrev_b32_e32 v0, 2, v13                               // 00000000309C: 24001A82
	ds_add_rtn_u32 v0, v0, v7                                  // 0000000030A0: D8400000 00000700
	s_waitcnt lgkmcnt(0)                                       // 0000000030A8: BF8CC07F
	v_add_u32_e32 v0, s34, v0                                  // 0000000030AC: 68000022
	v_ashrrev_i32_e32 v1, 31, v0                               // 0000000030B0: 2202009F
	v_lshl_add_u64 v[0:1], v[0:1], 2, s[12:13]                 // 0000000030B4: D2080000 00310500
	s_or_b64 s[42:43], s[42:43], exec                          // 0000000030BC: 87AA7E2A
	s_or_b64 exec, exec, s[0:1]                                // 0000000030C0: 87FE007E
	s_and_saveexec_b64 s[0:1], s[42:43]                        // 0000000030C4: BE80202A
	s_cbranch_execnz 65406                                     // 0000000030C8: BF89FF7E <_ZN5aiter11PrefillTopKL10topKPerRowILi1024ELi2048ELi2048ELi512EEEvPvPKfPKiS6_PiPfii+0x12c4>
	s_branch 65408                                             // 0000000030CC: BF82FF80 <_ZN5aiter11PrefillTopKL10topKPerRowILi1024ELi2048ELi2048ELi512EEEvPvPKfPKiS6_PiPfii+0x12d0>
	s_andn2_saveexec_b64 s[0:1], s[30:31]                      // 0000000030D0: BE80231E
	s_cbranch_execz 65485                                      // 0000000030D4: BF88FFCD <_ZN5aiter11PrefillTopKL10topKPerRowILi1024ELi2048ELi2048ELi512EEEvPvPKfPKiS6_PiPfii+0x140c>
	v_lshlrev_b32_e32 v0, 2, v13                               // 0000000030D8: 24001A82
	ds_add_rtn_u32 v0, v0, v7                                  // 0000000030DC: D8400000 00000700
	s_waitcnt lgkmcnt(0)                                       // 0000000030E4: BF8CC07F
	v_add_u32_e32 v0, s34, v0                                  // 0000000030E8: 68000022
	v_ashrrev_i32_e32 v1, 31, v0                               // 0000000030EC: 2202009F
	v_lshl_add_u64 v[0:1], v[0:1], 2, s[12:13]                 // 0000000030F0: D2080000 00310500
	s_or_b64 s[42:43], s[42:43], exec                          // 0000000030F8: 87AA7E2A
	s_or_b64 exec, exec, s[0:1]                                // 0000000030FC: 87FE007E
	s_and_saveexec_b64 s[0:1], s[42:43]                        // 000000003100: BE80202A
	s_cbranch_execz 65126                                      // 000000003104: BF88FE66 <_ZN5aiter11PrefillTopKL10topKPerRowILi1024ELi2048ELi2048ELi512EEEvPvPKfPKiS6_PiPfii+0xea0>
	v_add_u32_e32 v2, 3, v5                                    // 000000003108: 68040A83
	global_store_dword v[0:1], v2, off                         // 00000000310C: DC708000 007F0200
	s_branch 65122                                             // 000000003114: BF82FE62 <_ZN5aiter11PrefillTopKL10topKPerRowILi1024ELi2048ELi2048ELi512EEEvPvPKfPKiS6_PiPfii+0xea0>
	s_or_b64 exec, exec, s[20:21]                              // 000000003118: 87FE147E
	s_and_saveexec_b64 s[20:21], s[2:3]                        // 00000000311C: BE942002
	s_cbranch_execz 96                                         // 000000003120: BF880060 <_ZN5aiter11PrefillTopKL10topKPerRowILi1024ELi2048ELi2048ELi512EEEvPvPKfPKiS6_PiPfii+0x16a4>
	global_load_dword v5, v18, s[36:37]                        // 000000003124: DC508000 05240012
	s_waitcnt vmcnt(0)                                         // 00000000312C: BF8C0F70
	v_cvt_f16_f32_e32 v3, v5                                   // 000000003130: 7E061505
	v_and_b32_e32 v0, 0x7fff, v3                               // 000000003134: 260006FF 00007FFF
	v_xor_b32_e32 v0, 0x7fe0, v0                               // 00000000313C: 2A0000FF 00007FE0
	v_cmp_gt_f32_e32 vcc, 0, v5                                // 000000003144: 7C880A80
	s_nop 1                                                    // 000000003148: BF800001
	v_cndmask_b32_e32 v0, v0, v3, vcc                          // 00000000314C: 00000700
	v_lshrrev_b16_e32 v2, 5, v0                                // 000000003150: 56040085
	v_cmp_le_i32_e64 s[0:1], v19, v2                           // 000000003154: D0C30000 00020513
	s_mov_b64 s[26:27], 0                                      // 00000000315C: BE9A0180
	s_and_saveexec_b64 s[22:23], s[0:1]                        // 000000003160: BE962000
	s_xor_b64 s[22:23], exec, s[22:23]                         // 000000003164: 8896167E
	s_cbranch_execz 315                                        // 000000003168: BF88013B <_ZN5aiter11PrefillTopKL10topKPerRowILi1024ELi2048ELi2048ELi512EEEvPvPKfPKiS6_PiPfii+0x1a58>
	v_cmp_eq_u32_e64 s[0:1], v19, v2                           // 00000000316C: D0CA0000 00020513
	s_mov_b64 s[28:29], 0                                      // 000000003174: BE9C0180
	s_and_saveexec_b64 s[26:27], s[0:1]                        // 000000003178: BE9A2000
	s_cbranch_execz 64                                         // 00000000317C: BF880040 <_ZN5aiter11PrefillTopKL10topKPerRowILi1024ELi2048ELi2048ELi512EEEvPvPKfPKiS6_PiPfii+0x1680>
	s_mov_b64 s[0:1], src_shared_base                          // 000000003180: BE8001EB
	v_mov_b32_e32 v0, 0x3180                                   // 000000003184: 7E0002FF 00003180
	v_mov_b32_e32 v1, s1                                       // 00000000318C: 7E020201
	flat_load_dword v0, v[0:1] sc0 sc1                         // 000000003190: DE510000 00000000
	s_waitcnt vmcnt(0)                                         // 000000003198: BF8C0F70
	s_movk_i32 s0, 0x800                                       // 00000000319C: B0000800
	s_waitcnt lgkmcnt(0)                                       // 0000000031A0: BF8CC07F
	v_cmp_gt_i32_e64 s[0:1], s0, v0                            // 0000000031A4: D0C40000 00020000
	s_mov_b64 s[30:31], 0                                      // 0000000031AC: BE9E0180
	s_and_saveexec_b64 s[28:29], s[0:1]                        // 0000000031B0: BE9C2000
	s_cbranch_execz 48                                         // 0000000031B4: BF880030 <_ZN5aiter11PrefillTopKL10topKPerRowILi1024ELi2048ELi2048ELi512EEEvPvPKfPKiS6_PiPfii+0x1678>
	s_mov_b64 s[42:43], exec                                   // 0000000031B8: BEAA017E
	v_mbcnt_lo_u32_b32 v0, s42, 0                              // 0000000031BC: D28C0000 0001002A
	v_mbcnt_hi_u32_b32 v0, s43, v0                             // 0000000031C4: D28D0000 0002002B
	v_cmp_eq_u32_e64 s[0:1], 0, v0                             // 0000000031CC: D0CA0000 00020080
	s_and_saveexec_b64 s[30:31], s[0:1]                        // 0000000031D4: BE9E2000
	s_cbranch_execz 5                                          // 0000000031D8: BF880005 <_ZN5aiter11PrefillTopKL10topKPerRowILi1024ELi2048ELi2048ELi512EEEvPvPKfPKiS6_PiPfii+0x15f0>
	s_bcnt1_i32_b64 s0, s[42:43]                               // 0000000031DC: BE800D2A
	v_mov_b32_e32 v1, 0                                        // 0000000031E0: 7E020280
	v_mov_b32_e32 v2, s0                                       // 0000000031E4: 7E040200
	ds_add_rtn_u32 v1, v1, v2 offset:12672                     // 0000000031E8: D8403180 01000201
	s_or_b64 exec, exec, s[30:31]                              // 0000000031F0: 87FE1E7E
	s_waitcnt lgkmcnt(0)                                       // 0000000031F4: BF8CC07F
	v_readfirstlane_b32 s0, v1                                 // 0000000031F8: 7E000501
	s_nop 1                                                    // 0000000031FC: BF800001
	v_add_u32_e32 v2, s0, v0                                   // 000000003200: 68040000
	s_movk_i32 s0, 0x800                                       // 000000003204: B0000800
	v_cmp_gt_i32_e64 s[0:1], s0, v2                            // 000000003208: D0C40000 00020400
	s_mov_b64 s[30:31], 0                                      // 000000003210: BE9E0180
	s_and_saveexec_b64 s[42:43], s[0:1]                        // 000000003214: BEAA2000
	s_xor_b64 s[0:1], exec, s[42:43]                           // 000000003218: 88802A7E
	s_cbranch_execz 20                                         // 00000000321C: BF880014 <_ZN5aiter11PrefillTopKL10topKPerRowILi1024ELi2048ELi2048ELi512EEEvPvPKfPKiS6_PiPfii+0x1670>
	s_mov_b64 s[30:31], exec                                   // 000000003220: BE9E017E
	v_xor_b32_e32 v0, -1, v3                                   // 000000003224: 2A0006C1
	v_or_b32_e32 v1, 0x8000, v3                                // 000000003228: 280206FF 00008000
	v_cndmask_b32_e32 v0, v1, v0, vcc                          // 000000003230: 00000101
	v_xor_b32_e32 v0, -1, v0                                   // 000000003234: 2A0000C1
	v_and_b32_e32 v0, 31, v0                                   // 000000003238: 2600009F
	v_mov_b32_e32 v1, 2                                        // 00000000323C: 7E020282
	v_lshlrev_b32_sdwa v0, v1, v0 dst_sel:DWORD dst_unused:UNUSED_PAD src0_sel:DWORD src1_sel:WORD_0// 000000003240: 240000F9 04060601
	v_mov_b32_e32 v1, 1                                        // 000000003248: 7E020281
	ds_add_u32 v0, v1 offset:8192                              // 00000000324C: D8002000 00000100
	v_ashrrev_i32_e32 v3, 31, v2                               // 000000003254: 2206049F
	v_lshl_add_u64 v[0:1], v[2:3], 3, s[16:17]                 // 000000003258: D2080000 00410702
	global_store_dword v[0:1], v5, off                         // 000000003260: DC708000 007F0500
	v_lshl_add_u64 v[0:1], v[0:1], 0, 4                        // 000000003268: D2080000 02110100
	s_or_b64 exec, exec, s[0:1]                                // 000000003270: 87FE007E
	s_and_b64 s[30:31], s[30:31], exec                         // 000000003274: 869E7E1E
	s_or_b64 exec, exec, s[28:29]                              // 000000003278: 87FE1C7E
	s_and_b64 s[28:29], s[30:31], exec                         // 00000000327C: 869C7E1E
	s_or_b64 exec, exec, s[26:27]                              // 000000003280: 87FE1A7E
	s_and_b64 s[26:27], s[28:29], exec                         // 000000003284: 869A7E1C
	s_andn2_saveexec_b64 s[0:1], s[22:23]                      // 000000003288: BE802316
	s_cbranch_execnz 244                                       // 00000000328C: BF8900F4 <_ZN5aiter11PrefillTopKL10topKPerRowILi1024ELi2048ELi2048ELi512EEEvPvPKfPKiS6_PiPfii+0x1a60>
	s_or_b64 exec, exec, s[0:1]                                // 000000003290: 87FE007E
	s_and_b64 exec, exec, s[26:27]                             // 000000003294: 86FE1A7E
	s_cbranch_execz 2                                          // 000000003298: BF880002 <_ZN5aiter11PrefillTopKL10topKPerRowILi1024ELi2048ELi2048ELi512EEEvPvPKfPKiS6_PiPfii+0x16a4>
	global_store_dword v[0:1], v6, off                         // 00000000329C: DC708000 007F0600
	s_or_b64 exec, exec, s[20:21]                              // 0000000032A4: 87FE147E
	s_and_saveexec_b64 s[20:21], s[8:9]                        // 0000000032A8: BE942008
	s_cbranch_execz 99                                         // 0000000032AC: BF880063 <_ZN5aiter11PrefillTopKL10topKPerRowILi1024ELi2048ELi2048ELi512EEEvPvPKfPKiS6_PiPfii+0x183c>
	v_ashrrev_i32_e32 v5, 31, v4                               // 0000000032B0: 220A089F
	v_lshl_add_u64 v[0:1], v[4:5], 2, s[36:37]                 // 0000000032B4: D2080000 00910504
	global_load_dword v5, v[0:1], off                          // 0000000032BC: DC508000 057F0000
	s_waitcnt vmcnt(0)                                         // 0000000032C4: BF8C0F70
	v_cvt_f16_f32_e32 v3, v5                                   // 0000000032C8: 7E061505
	v_and_b32_e32 v0, 0x7fff, v3                               // 0000000032CC: 260006FF 00007FFF
	v_xor_b32_e32 v0, 0x7fe0, v0                               // 0000000032D4: 2A0000FF 00007FE0
	v_cmp_gt_f32_e32 vcc, 0, v5                                // 0000000032DC: 7C880A80
	s_nop 1                                                    // 0000000032E0: BF800001
	v_cndmask_b32_e32 v0, v0, v3, vcc                          // 0000000032E4: 00000700
	v_lshrrev_b16_e32 v2, 5, v0                                // 0000000032E8: 56040085
	v_cmp_le_i32_e64 s[0:1], v19, v2                           // 0000000032EC: D0C30000 00020513
	s_mov_b64 s[26:27], 0                                      // 0000000032F4: BE9A0180
	s_and_saveexec_b64 s[22:23], s[0:1]                        // 0000000032F8: BE962000
	s_xor_b64 s[22:23], exec, s[22:23]                         // 0000000032FC: 8896167E
	s_cbranch_execz 229                                        // 000000003300: BF8800E5 <_ZN5aiter11PrefillTopKL10topKPerRowILi1024ELi2048ELi2048ELi512EEEvPvPKfPKiS6_PiPfii+0x1a98>
	v_cmp_eq_u32_e64 s[0:1], v19, v2                           // 000000003304: D0CA0000 00020513
	s_mov_b64 s[28:29], 0                                      // 00000000330C: BE9C0180
	s_and_saveexec_b64 s[26:27], s[0:1]                        // 000000003310: BE9A2000
	s_cbranch_execz 64                                         // 000000003314: BF880040 <_ZN5aiter11PrefillTopKL10topKPerRowILi1024ELi2048ELi2048ELi512EEEvPvPKfPKiS6_PiPfii+0x1818>
	s_mov_b64 s[0:1], src_shared_base                          // 000000003318: BE8001EB
	v_mov_b32_e32 v0, 0x3180                                   // 00000000331C: 7E0002FF 00003180
	v_mov_b32_e32 v1, s1                                       // 000000003324: 7E020201
	flat_load_dword v0, v[0:1] sc0 sc1                         // 000000003328: DE510000 00000000
	s_waitcnt vmcnt(0)                                         // 000000003330: BF8C0F70
	s_movk_i32 s0, 0x800                                       // 000000003334: B0000800
	s_waitcnt lgkmcnt(0)                                       // 000000003338: BF8CC07F
	v_cmp_gt_i32_e64 s[0:1], s0, v0                            // 00000000333C: D0C40000 00020000
	s_mov_b64 s[30:31], 0                                      // 000000003344: BE9E0180
	s_and_saveexec_b64 s[28:29], s[0:1]                        // 000000003348: BE9C2000
	s_cbranch_execz 48                                         // 00000000334C: BF880030 <_ZN5aiter11PrefillTopKL10topKPerRowILi1024ELi2048ELi2048ELi512EEEvPvPKfPKiS6_PiPfii+0x1810>
	s_mov_b64 s[42:43], exec                                   // 000000003350: BEAA017E
	v_mbcnt_lo_u32_b32 v0, s42, 0                              // 000000003354: D28C0000 0001002A
	v_mbcnt_hi_u32_b32 v0, s43, v0                             // 00000000335C: D28D0000 0002002B
	v_cmp_eq_u32_e64 s[0:1], 0, v0                             // 000000003364: D0CA0000 00020080
	s_and_saveexec_b64 s[30:31], s[0:1]                        // 00000000336C: BE9E2000
	s_cbranch_execz 5                                          // 000000003370: BF880005 <_ZN5aiter11PrefillTopKL10topKPerRowILi1024ELi2048ELi2048ELi512EEEvPvPKfPKiS6_PiPfii+0x1788>
	s_bcnt1_i32_b64 s0, s[42:43]                               // 000000003374: BE800D2A
	v_mov_b32_e32 v1, 0                                        // 000000003378: 7E020280
	v_mov_b32_e32 v2, s0                                       // 00000000337C: 7E040200
	ds_add_rtn_u32 v1, v1, v2 offset:12672                     // 000000003380: D8403180 01000201
	s_or_b64 exec, exec, s[30:31]                              // 000000003388: 87FE1E7E
	s_waitcnt lgkmcnt(0)                                       // 00000000338C: BF8CC07F
	v_readfirstlane_b32 s0, v1                                 // 000000003390: 7E000501
	s_nop 1                                                    // 000000003394: BF800001
	v_add_u32_e32 v2, s0, v0                                   // 000000003398: 68040000
	s_movk_i32 s0, 0x800                                       // 00000000339C: B0000800
	v_cmp_gt_i32_e64 s[0:1], s0, v2                            // 0000000033A0: D0C40000 00020400
	s_mov_b64 s[30:31], 0                                      // 0000000033A8: BE9E0180
	s_and_saveexec_b64 s[42:43], s[0:1]                        // 0000000033AC: BEAA2000
	s_xor_b64 s[0:1], exec, s[42:43]                           // 0000000033B0: 88802A7E
	s_cbranch_execz 20                                         // 0000000033B4: BF880014 <_ZN5aiter11PrefillTopKL10topKPerRowILi1024ELi2048ELi2048ELi512EEEvPvPKfPKiS6_PiPfii+0x1808>
	s_mov_b64 s[30:31], exec                                   // 0000000033B8: BE9E017E
	v_xor_b32_e32 v0, -1, v3                                   // 0000000033BC: 2A0006C1
	v_or_b32_e32 v1, 0x8000, v3                                // 0000000033C0: 280206FF 00008000
	v_cndmask_b32_e32 v0, v1, v0, vcc                          // 0000000033C8: 00000101
	v_xor_b32_e32 v0, -1, v0                                   // 0000000033CC: 2A0000C1
	v_and_b32_e32 v0, 31, v0                                   // 0000000033D0: 2600009F
	v_mov_b32_e32 v1, 2                                        // 0000000033D4: 7E020282
	v_lshlrev_b32_sdwa v0, v1, v0 dst_sel:DWORD dst_unused:UNUSED_PAD src0_sel:DWORD src1_sel:WORD_0// 0000000033D8: 240000F9 04060601
	v_mov_b32_e32 v1, 1                                        // 0000000033E0: 7E020281
	ds_add_u32 v0, v1 offset:8192                              // 0000000033E4: D8002000 00000100
	v_ashrrev_i32_e32 v3, 31, v2                               // 0000000033EC: 2206049F
	v_lshl_add_u64 v[0:1], v[2:3], 3, s[16:17]                 // 0000000033F0: D2080000 00410702
	global_store_dword v[0:1], v5, off                         // 0000000033F8: DC708000 007F0500
	v_lshl_add_u64 v[0:1], v[0:1], 0, 4                        // 000000003400: D2080000 02110100
	s_or_b64 exec, exec, s[0:1]                                // 000000003408: 87FE007E
	s_and_b64 s[30:31], s[30:31], exec                         // 00000000340C: 869E7E1E
	s_or_b64 exec, exec, s[28:29]                              // 000000003410: 87FE1C7E
	s_and_b64 s[28:29], s[30:31], exec                         // 000000003414: 869C7E1E
	s_or_b64 exec, exec, s[26:27]                              // 000000003418: 87FE1A7E
	s_and_b64 s[26:27], s[28:29], exec                         // 00000000341C: 869A7E1C
	s_andn2_saveexec_b64 s[0:1], s[22:23]                      // 000000003420: BE802316
	s_cbranch_execnz 158                                       // 000000003424: BF89009E <_ZN5aiter11PrefillTopKL10topKPerRowILi1024ELi2048ELi2048ELi512EEEvPvPKfPKiS6_PiPfii+0x1aa0>
	s_or_b64 exec, exec, s[0:1]                                // 000000003428: 87FE007E
	s_and_b64 exec, exec, s[26:27]                             // 00000000342C: 86FE1A7E
	s_cbranch_execz 2                                          // 000000003430: BF880002 <_ZN5aiter11PrefillTopKL10topKPerRowILi1024ELi2048ELi2048ELi512EEEvPvPKfPKiS6_PiPfii+0x183c>
	global_store_dword v[0:1], v4, off                         // 000000003434: DC708000 007F0400
	s_or_b64 exec, exec, s[20:21]                              // 00000000343C: 87FE147E
	s_waitcnt lgkmcnt(0)                                       // 000000003440: BF8CC07F
	s_barrier                                                  // 000000003444: BF8A0000
	s_and_saveexec_b64 s[0:1], s[10:11]                        // 000000003448: BE80200A
	s_cbranch_execz 3                                          // 00000000344C: BF880003 <_ZN5aiter11PrefillTopKL10topKPerRowILi1024ELi2048ELi2048ELi512EEEvPvPKfPKiS6_PiPfii+0x185c>
	v_mov_b32_e32 v0, 0                                        // 000000003450: 7E000280
	ds_write_b32 v0, v0 offset:12672                           // 000000003454: D81A3180 00000000
	s_or_b64 exec, exec, s[0:1]                                // 00000000345C: 87FE007E
	s_and_saveexec_b64 s[10:11], s[18:19]                      // 000000003460: BE8A2012
	s_cbranch_execz 184                                        // 000000003464: BF8800B8 <_ZN5aiter11PrefillTopKL10topKPerRowILi1024ELi2048ELi2048ELi512EEEvPvPKfPKiS6_PiPfii+0x1b48>
	v_cmp_gt_u32_e32 vcc, 32, v6                               // 000000003468: 7D980CA0
	v_mov_b32_e32 v0, 0                                        // 00000000346C: 7E000280
	s_and_saveexec_b64 s[0:1], vcc                             // 000000003470: BE80206A
	s_cbranch_execz 2                                          // 000000003474: BF880002 <_ZN5aiter11PrefillTopKL10topKPerRowILi1024ELi2048ELi2048ELi512EEEvPvPKfPKiS6_PiPfii+0x1880>
	ds_read_b32 v0, v18 offset:8192                            // 000000003478: D86C2000 00000012
	s_or_b64 exec, exec, s[0:1]                                // 000000003480: 87FE007E
	v_mbcnt_lo_u32_b32 v1, -1, 0                               // 000000003484: D28C0001 000100C1
	v_mbcnt_hi_u32_b32 v1, -1, v1                              // 00000000348C: D28D0001 000202C1
	v_and_b32_e32 v2, 64, v1                                   // 000000003494: 260402C0
	v_add_u32_e32 v3, -1, v1                                   // 000000003498: 680602C1
	v_cmp_lt_i32_e64 s[0:1], v3, v2                            // 00000000349C: D0C10000 00020503
	s_nop 1                                                    // 0000000034A4: BF800001
	v_cndmask_b32_e64 v3, v3, v1, s[0:1]                       // 0000000034A8: D1000003 00020303
	v_lshlrev_b32_e32 v3, 2, v3                                // 0000000034B0: 24060682
	s_waitcnt lgkmcnt(0)                                       // 0000000034B4: BF8CC07F
	ds_bpermute_b32 v3, v3, v0                                 // 0000000034B8: D87E0000 03000003
	v_and_b32_e32 v5, 63, v6                                   // 0000000034C0: 260A0CBF
	v_cmp_ne_u32_e64 s[0:1], 0, v5                             // 0000000034C4: D0CD0000 00020A80
	s_waitcnt lgkmcnt(0)                                       // 0000000034CC: BF8CC07F
	s_nop 0                                                    // 0000000034D0: BF800000
	v_cndmask_b32_e64 v3, 0, v3, s[0:1]                        // 0000000034D4: D1000003 00020680
	v_add_u32_e32 v3, v3, v0                                   // 0000000034DC: 68060103
	v_add_u32_e32 v7, -2, v1                                   // 0000000034E0: 680E02C2
	v_cmp_lt_i32_e64 s[0:1], v7, v2                            // 0000000034E4: D0C10000 00020507
	s_nop 1                                                    // 0000000034EC: BF800001
	v_cndmask_b32_e64 v7, v7, v1, s[0:1]                       // 0000000034F0: D1000007 00020307
	v_lshlrev_b32_e32 v7, 2, v7                                // 0000000034F8: 240E0E82
	ds_bpermute_b32 v7, v7, v3                                 // 0000000034FC: D87E0000 07000307
	v_cmp_lt_u32_e64 s[0:1], 1, v5                             // 000000003504: D0C90000 00020A81
	s_waitcnt lgkmcnt(0)                                       // 00000000350C: BF8CC07F
	s_nop 0                                                    // 000000003510: BF800000
	v_cndmask_b32_e64 v7, 0, v7, s[0:1]                        // 000000003514: D1000007 00020E80
	v_add_u32_e32 v3, v7, v3                                   // 00000000351C: 68060707
	v_add_u32_e32 v7, -4, v1                                   // 000000003520: 680E02C4
	v_cmp_lt_i32_e64 s[0:1], v7, v2                            // 000000003524: D0C10000 00020507
	s_nop 1                                                    // 00000000352C: BF800001
	v_cndmask_b32_e64 v7, v7, v1, s[0:1]                       // 000000003530: D1000007 00020307
	v_lshlrev_b32_e32 v7, 2, v7                                // 000000003538: 240E0E82
	ds_bpermute_b32 v7, v7, v3                                 // 00000000353C: D87E0000 07000307
	v_cmp_lt_u32_e64 s[0:1], 3, v5                             // 000000003544: D0C90000 00020A83
	s_waitcnt lgkmcnt(0)                                       // 00000000354C: BF8CC07F
	s_nop 0                                                    // 000000003550: BF800000
	v_cndmask_b32_e64 v7, 0, v7, s[0:1]                        // 000000003554: D1000007 00020E80
	v_add_u32_e32 v3, v7, v3                                   // 00000000355C: 68060707
	v_add_u32_e32 v7, -8, v1                                   // 000000003560: 680E02C8
	v_cmp_lt_i32_e64 s[0:1], v7, v2                            // 000000003564: D0C10000 00020507
	s_nop 1                                                    // 00000000356C: BF800001
	v_cndmask_b32_e64 v7, v7, v1, s[0:1]                       // 000000003570: D1000007 00020307
	v_lshlrev_b32_e32 v7, 2, v7                                // 000000003578: 240E0E82
	ds_bpermute_b32 v7, v7, v3                                 // 00000000357C: D87E0000 07000307
	v_cmp_lt_u32_e64 s[0:1], 7, v5                             // 000000003584: D0C90000 00020A87
	s_waitcnt lgkmcnt(0)                                       // 00000000358C: BF8CC07F
	s_nop 0                                                    // 000000003590: BF800000
	v_cndmask_b32_e64 v7, 0, v7, s[0:1]                        // 000000003594: D1000007 00020E80
	v_add_u32_e32 v3, v7, v3                                   // 00000000359C: 68060707
	v_add_u32_e32 v7, -16, v1                                  // 0000000035A0: 680E02D0
	v_cmp_lt_i32_e64 s[0:1], v7, v2                            // 0000000035A4: D0C10000 00020507
	s_nop 1                                                    // 0000000035AC: BF800001
	v_cndmask_b32_e64 v7, v7, v1, s[0:1]                       // 0000000035B0: D1000007 00020307
	v_lshlrev_b32_e32 v7, 2, v7                                // 0000000035B8: 240E0E82
	ds_bpermute_b32 v7, v7, v3                                 // 0000000035BC: D87E0000 07000307
	v_cmp_lt_u32_e64 s[0:1], 15, v5                            // 0000000035C4: D0C90000 00020A8F
	s_waitcnt lgkmcnt(0)                                       // 0000000035CC: BF8CC07F
	s_nop 0                                                    // 0000000035D0: BF800000
	v_cndmask_b32_e64 v7, 0, v7, s[0:1]                        // 0000000035D4: D1000007 00020E80
	v_add_u32_e32 v3, v7, v3                                   // 0000000035DC: 68060707
	v_subrev_u32_e32 v7, 32, v1                                // 0000000035E0: 6C0E02A0
	v_cmp_lt_i32_e64 s[0:1], v7, v2                            // 0000000035E4: D0C10000 00020507
	s_nop 1                                                    // 0000000035EC: BF800001
	v_cndmask_b32_e64 v1, v7, v1, s[0:1]                       // 0000000035F0: D1000001 00020307
	v_lshlrev_b32_e32 v1, 2, v1                                // 0000000035F8: 24020282
	ds_bpermute_b32 v1, v1, v3                                 // 0000000035FC: D87E0000 01000301
	v_cmp_lt_u32_e64 s[0:1], 31, v5                            // 000000003604: D0C90000 00020A9F
	s_waitcnt lgkmcnt(0)                                       // 00000000360C: BF8CC07F
	s_nop 0                                                    // 000000003610: BF800000
	v_cndmask_b32_e64 v1, 0, v1, s[0:1]                        // 000000003614: D1000001 00020280
	v_add_u32_e32 v1, v1, v3                                   // 00000000361C: 68020701
	v_sub_u32_e32 v0, v1, v0                                   // 000000003620: 6A000101
	s_and_saveexec_b64 s[0:1], vcc                             // 000000003624: BE80206A
	s_cbranch_execz 43                                         // 000000003628: BF88002B <_ZN5aiter11PrefillTopKL10topKPerRowILi1024ELi2048ELi2048ELi512EEEvPvPKfPKiS6_PiPfii+0x1ad8>
	ds_write_b32 v18, v0 offset:8192                           // 00000000362C: D81A2000 00000012
	s_or_b64 exec, exec, s[0:1]                                // 000000003634: 87FE007E
	v_cmp_eq_u32_e64 s[0:1], 31, v6                            // 000000003638: D0CA0000 00020C9F
	s_and_saveexec_b64 s[16:17], s[0:1]                        // 000000003640: BE902000
	s_cbranch_execnz 41                                        // 000000003644: BF890029 <_ZN5aiter11PrefillTopKL10topKPerRowILi1024ELi2048ELi2048ELi512EEEvPvPKfPKiS6_PiPfii+0x1aec>
	s_or_b64 exec, exec, s[16:17]                              // 000000003648: 87FE107E
	s_and_b64 exec, exec, vcc                                  // 00000000364C: 86FE6A7E
	s_cbranch_execnz 44                                        // 000000003650: BF89002C <_ZN5aiter11PrefillTopKL10topKPerRowILi1024ELi2048ELi2048ELi512EEEvPvPKfPKiS6_PiPfii+0x1b04>
	s_branch 60                                                // 000000003654: BF82003C <_ZN5aiter11PrefillTopKL10topKPerRowILi1024ELi2048ELi2048ELi512EEEvPvPKfPKiS6_PiPfii+0x1b48>
	s_andn2_saveexec_b64 s[0:1], s[22:23]                      // 000000003658: BE802316
	s_cbranch_execz 65292                                      // 00000000365C: BF88FF0C <_ZN5aiter11PrefillTopKL10topKPerRowILi1024ELi2048ELi2048ELi512EEEvPvPKfPKiS6_PiPfii+0x1690>
	v_lshlrev_b32_e32 v0, 2, v2                                // 000000003660: 24000482
	v_mov_b32_e32 v1, 1                                        // 000000003664: 7E020281
	ds_add_rtn_u32 v0, v0, v1                                  // 000000003668: D8400000 00000100
	s_waitcnt lgkmcnt(0)                                       // 000000003670: BF8CC07F
	v_add_u32_e32 v0, s34, v0                                  // 000000003674: 68000022
	v_ashrrev_i32_e32 v1, 31, v0                               // 000000003678: 2202009F
	v_lshl_add_u64 v[0:1], v[0:1], 2, s[12:13]                 // 00000000367C: D2080000 00310500
	s_or_b64 s[26:27], s[26:27], exec                          // 000000003684: 879A7E1A
	s_or_b64 exec, exec, s[0:1]                                // 000000003688: 87FE007E
	s_and_b64 exec, exec, s[26:27]                             // 00000000368C: 86FE1A7E
	s_cbranch_execnz 65282                                     // 000000003690: BF89FF02 <_ZN5aiter11PrefillTopKL10topKPerRowILi1024ELi2048ELi2048ELi512EEEvPvPKfPKiS6_PiPfii+0x169c>
	s_branch 65283                                             // 000000003694: BF82FF03 <_ZN5aiter11PrefillTopKL10topKPerRowILi1024ELi2048ELi2048ELi512EEEvPvPKfPKiS6_PiPfii+0x16a4>
	s_andn2_saveexec_b64 s[0:1], s[22:23]                      // 000000003698: BE802316
	s_cbranch_execz 65378                                      // 00000000369C: BF88FF62 <_ZN5aiter11PrefillTopKL10topKPerRowILi1024ELi2048ELi2048ELi512EEEvPvPKfPKiS6_PiPfii+0x1828>
	v_lshlrev_b32_e32 v0, 2, v2                                // 0000000036A0: 24000482
	v_mov_b32_e32 v1, 1                                        // 0000000036A4: 7E020281
	ds_add_rtn_u32 v0, v0, v1                                  // 0000000036A8: D8400000 00000100
	s_waitcnt lgkmcnt(0)                                       // 0000000036B0: BF8CC07F
	v_add_u32_e32 v0, s34, v0                                  // 0000000036B4: 68000022
	v_ashrrev_i32_e32 v1, 31, v0                               // 0000000036B8: 2202009F
	v_lshl_add_u64 v[0:1], v[0:1], 2, s[12:13]                 // 0000000036BC: D2080000 00310500
	s_or_b64 s[26:27], s[26:27], exec                          // 0000000036C4: 879A7E1A
	s_or_b64 exec, exec, s[0:1]                                // 0000000036C8: 87FE007E
	s_and_b64 exec, exec, s[26:27]                             // 0000000036CC: 86FE1A7E
	s_cbranch_execnz 65368                                     // 0000000036D0: BF89FF58 <_ZN5aiter11PrefillTopKL10topKPerRowILi1024ELi2048ELi2048ELi512EEEvPvPKfPKiS6_PiPfii+0x1834>
	s_branch 65369                                             // 0000000036D4: BF82FF59 <_ZN5aiter11PrefillTopKL10topKPerRowILi1024ELi2048ELi2048ELi512EEEvPvPKfPKiS6_PiPfii+0x183c>
	s_or_b64 exec, exec, s[0:1]                                // 0000000036D8: 87FE007E
	v_cmp_eq_u32_e64 s[0:1], 31, v6                            // 0000000036DC: D0CA0000 00020C9F
	s_and_saveexec_b64 s[16:17], s[0:1]                        // 0000000036E4: BE902000
	s_cbranch_execz 65495                                      // 0000000036E8: BF88FFD7 <_ZN5aiter11PrefillTopKL10topKPerRowILi1024ELi2048ELi2048ELi512EEEvPvPKfPKiS6_PiPfii+0x1a48>
	v_mov_b32_e32 v2, 0                                        // 0000000036EC: 7E040280
	ds_write_b32 v2, v1 offset:8320                            // 0000000036F0: D81A2080 00000102
	s_or_b64 exec, exec, s[16:17]                              // 0000000036F8: 87FE107E
	s_and_b64 exec, exec, vcc                                  // 0000000036FC: 86FE6A7E
	s_cbranch_execz 17                                         // 000000003700: BF880011 <_ZN5aiter11PrefillTopKL10topKPerRowILi1024ELi2048ELi2048ELi512EEEvPvPKfPKiS6_PiPfii+0x1b48>
	ds_read_b32 v1, v18 offset:8196                            // 000000003704: D86C2004 01000012
	v_cmp_gt_i32_e32 vcc, s55, v0                              // 00000000370C: 7D880037
	s_waitcnt lgkmcnt(0)                                       // 000000003710: BF8CC07F
	v_cmp_le_i32_e64 s[0:1], s55, v1                           // 000000003714: D0C30000 00020237
	s_and_b64 s[0:1], vcc, s[0:1]                              // 00000000371C: 8680006A
	s_and_b64 exec, exec, s[0:1]                               // 000000003720: 86FE007E
	s_cbranch_execz 8                                          // 000000003724: BF880008 <_ZN5aiter11PrefillTopKL10topKPerRowILi1024ELi2048ELi2048ELi512EEEvPvPKfPKiS6_PiPfii+0x1b48>
	v_sub_u32_e32 v1, v1, v0                                   // 000000003728: 6A020101
	v_mov_b32_e32 v2, 0x2084                                   // 00000000372C: 7E0402FF 00002084
	ds_write2_b32 v2, v6, v1 offset1:1                         // 000000003734: D81C0100 00010602
	v_mov_b32_e32 v1, 0                                        // 00000000373C: 7E020280
	ds_write_b32 v1, v0 offset:8332                            // 000000003740: D81A208C 00000001
	s_or_b64 exec, exec, s[10:11]                              // 000000003748: 87FE0A7E
	s_waitcnt lgkmcnt(0)                                       // 00000000374C: BF8CC07F
	s_barrier                                                  // 000000003750: BF8A0000
	v_cmp_gt_i32_e32 vcc, s57, v6                              // 000000003754: 7D880C39
	s_and_saveexec_b64 s[0:1], vcc                             // 000000003758: BE80206A
	s_cbranch_execz 122                                        // 00000000375C: BF88007A <_ZN5aiter11PrefillTopKL10topKPerRowILi1024ELi2048ELi2048ELi512EEEvPvPKfPKiS6_PiPfii+0x1d48>
	s_movk_i32 s10, 0x2000                                     // 000000003760: B00A2000
	v_add_u32_e64 v0, s10, 0                                   // 000000003764: D1340000 0001000A
	ds_read2_b32 v[0:1], v0 offset0:33 offset1:35              // 00000000376C: D86E2321 00000000
	v_mov_b32_e32 v3, 0                                        // 000000003774: 7E060280
	s_min_i32 s28, s57, 0x800                                  // 000000003778: 831CFF39 00000800
	s_add_i32 s29, s56, s34                                    // 000000003780: 811D2238
	s_waitcnt lgkmcnt(0)                                       // 000000003784: BF8CC07F
	v_sub_u32_e32 v5, s55, v1                                  // 000000003788: 6A0A0237
	v_add_u32_e32 v1, s29, v1                                  // 00000000378C: 6802021D
	v_lshlrev_b32_e32 v2, 3, v6                                // 000000003790: 24040C83
	s_add_u32 s4, s4, s14                                      // 000000003794: 80040E04
	s_addc_u32 s5, s5, s15                                     // 000000003798: 82050F05
	v_lshl_add_u64 v[8:9], s[4:5], 0, v[2:3]                   // 00000000379C: D2080008 04090004
	v_lshl_add_u64 v[8:9], v[8:9], 0, 4                        // 0000000037A4: D2080008 02110108
	s_mov_b64 s[4:5], 0                                        // 0000000037AC: BE840180
	s_mov_b64 s[10:11], src_shared_base                        // 0000000037B0: BE8A01EB
	v_mov_b32_e32 v2, 1                                        // 0000000037B4: 7E040281
	s_mov_b64 s[14:15], 0x2000                                 // 0000000037B8: BE8E01FF 00002000
	v_mov_b32_e32 v10, 0x3180                                  // 0000000037C0: 7E1402FF 00003180
	v_mov_b32_e32 v7, 2                                        // 0000000037C8: 7E0E0282
	v_mov_b32_e32 v16, v6                                      // 0000000037CC: 7E200306
	s_branch 9                                                 // 0000000037D0: BF820009 <_ZN5aiter11PrefillTopKL10topKPerRowILi1024ELi2048ELi2048ELi512EEEvPvPKfPKiS6_PiPfii+0x1bf8>
	s_or_b64 exec, exec, s[16:17]                              // 0000000037D4: 87FE107E
	v_add_u32_e32 v16, 0x400, v16                              // 0000000037D8: 682020FF 00000400
	v_cmp_le_i32_e32 vcc, s28, v16                             // 0000000037E0: 7D86201C
	s_or_b64 s[4:5], vcc, s[4:5]                               // 0000000037E4: 8784046A
	v_lshl_add_u64 v[8:9], v[8:9], 0, s[14:15]                 // 0000000037E8: D2080008 00390108
	s_andn2_b64 exec, exec, s[4:5]                             // 0000000037F0: 89FE047E
	s_cbranch_execz 84                                         // 0000000037F4: BF880054 <_ZN5aiter11PrefillTopKL10topKPerRowILi1024ELi2048ELi2048ELi512EEEvPvPKfPKiS6_PiPfii+0x1d48>
	global_load_dwordx2 v[12:13], v[8:9], off offset:-4        // 0000000037F8: DC549FFC 0C7F0008
	s_waitcnt vmcnt(0)                                         // 000000003800: BF8C0F70
	v_cvt_f16_f32_e32 v11, v12                                 // 000000003804: 7E16150C
	v_xor_b32_e32 v14, -1, v11                                 // 000000003808: 2A1C16C1
	v_or_b32_e32 v11, 0x8000, v11                              // 00000000380C: 281616FF 00008000
	v_cmp_gt_f32_e32 vcc, 0, v12                               // 000000003814: 7C881880
	s_nop 1                                                    // 000000003818: BF800001
	v_cndmask_b32_e32 v11, v11, v14, vcc                       // 00000000381C: 00161D0B
	v_xor_b32_e32 v11, -1, v11                                 // 000000003820: 2A1616C1
	v_and_b32_e32 v11, 31, v11                                 // 000000003824: 2616169F
	v_cmp_le_i32_sdwa s[16:17], v0, v11 src0_sel:DWORD src1_sel:WORD_0// 000000003828: 7D8616F9 04069000
	s_mov_b64 s[18:19], 0                                      // 000000003830: BE920180
	s_and_saveexec_b64 s[20:21], s[16:17]                      // 000000003834: BE942010
	s_xor_b64 s[16:17], exec, s[20:21]                         // 000000003838: 8890147E
	s_cbranch_execz 48                                         // 00000000383C: BF880030 <_ZN5aiter11PrefillTopKL10topKPerRowILi1024ELi2048ELi2048ELi512EEEvPvPKfPKiS6_PiPfii+0x1d00>
	v_cmp_eq_u32_sdwa s[22:23], v0, v11 src0_sel:DWORD src1_sel:WORD_0// 000000003840: 7D9416F9 04069600
	s_mov_b64 s[20:21], 0                                      // 000000003848: BE940180
	s_and_saveexec_b64 s[18:19], s[22:23]                      // 00000000384C: BE922016
	s_cbranch_execz 35                                         // 000000003850: BF880023 <_ZN5aiter11PrefillTopKL10topKPerRowILi1024ELi2048ELi2048ELi512EEEvPvPKfPKiS6_PiPfii+0x1ce0>
	v_mov_b32_e32 v11, s11                                     // 000000003854: 7E16020B
	flat_load_dword v11, v[10:11] sc0 sc1                      // 000000003858: DE510000 0B00000A
	s_waitcnt vmcnt(0) lgkmcnt(0)                              // 000000003860: BF8C0070
	v_cmp_lt_i32_e32 vcc, v11, v5                              // 000000003864: 7D820B0B
	s_mov_b64 s[22:23], 0                                      // 000000003868: BE960180
	s_and_saveexec_b64 s[20:21], vcc                           // 00000000386C: BE94206A
	s_cbranch_execz 25                                         // 000000003870: BF880019 <_ZN5aiter11PrefillTopKL10topKPerRowILi1024ELi2048ELi2048ELi512EEEvPvPKfPKiS6_PiPfii+0x1cd8>
	s_mov_b64 s[26:27], exec                                   // 000000003874: BE9A017E
	v_mbcnt_lo_u32_b32 v11, s26, 0                             // 000000003878: D28C000B 0001001A
	v_mbcnt_hi_u32_b32 v11, s27, v11                           // 000000003880: D28D000B 0002161B
	v_cmp_eq_u32_e32 vcc, 0, v11                               // 000000003888: 7D941680
	s_and_saveexec_b64 s[22:23], vcc                           // 00000000388C: BE96206A
	s_cbranch_execz 4                                          // 000000003890: BF880004 <_ZN5aiter11PrefillTopKL10topKPerRowILi1024ELi2048ELi2048ELi512EEEvPvPKfPKiS6_PiPfii+0x1ca4>
	s_bcnt1_i32_b64 s10, s[26:27]                              // 000000003894: BE8A0D1A
	v_mov_b32_e32 v12, s10                                     // 000000003898: 7E18020A
	ds_add_rtn_u32 v12, v3, v12 offset:12672                   // 00000000389C: D8403180 0C000C03
	s_or_b64 exec, exec, s[22:23]                              // 0000000038A4: 87FE167E
	s_waitcnt lgkmcnt(0)                                       // 0000000038A8: BF8CC07F
	v_readfirstlane_b32 s10, v12                               // 0000000038AC: 7E14050C
	s_nop 1                                                    // 0000000038B0: BF800001
	v_add_u32_e32 v11, s10, v11                                // 0000000038B4: 6816160A
	v_cmp_lt_i32_e32 vcc, v11, v5                              // 0000000038B8: 7D820B0B
	s_mov_b64 s[22:23], 0                                      // 0000000038BC: BE960180
	s_and_saveexec_b64 s[26:27], vcc                           // 0000000038C0: BE9A206A
	s_xor_b64 s[26:27], exec, s[26:27]                         // 0000000038C4: 889A1A7E
	s_mov_b64 s[22:23], exec                                   // 0000000038C8: BE96017E
	v_add_u32_e32 v14, v1, v11                                 // 0000000038CC: 681C1701
	s_or_b64 exec, exec, s[26:27]                              // 0000000038D0: 87FE1A7E
	s_and_b64 s[22:23], s[22:23], exec                         // 0000000038D4: 86967E16
	s_or_b64 exec, exec, s[20:21]                              // 0000000038D8: 87FE147E
	s_and_b64 s[20:21], s[22:23], exec                         // 0000000038DC: 86947E16
	s_or_b64 exec, exec, s[18:19]                              // 0000000038E0: 87FE127E
	s_and_b64 s[18:19], s[20:21], exec                         // 0000000038E4: 86927E14
	s_andn2_saveexec_b64 s[16:17], s[16:17]                    // 0000000038E8: BE902310
	s_cbranch_execnz 6                                         // 0000000038EC: BF890006 <_ZN5aiter11PrefillTopKL10topKPerRowILi1024ELi2048ELi2048ELi512EEEvPvPKfPKiS6_PiPfii+0x1d08>
	s_or_b64 exec, exec, s[16:17]                              // 0000000038F0: 87FE107E
	s_and_saveexec_b64 s[16:17], s[18:19]                      // 0000000038F4: BE902012
	s_cbranch_execz 65462                                      // 0000000038F8: BF88FFB6 <_ZN5aiter11PrefillTopKL10topKPerRowILi1024ELi2048ELi2048ELi512EEEvPvPKfPKiS6_PiPfii+0x1bd4>
	s_branch 12                                                // 0000000038FC: BF82000C <_ZN5aiter11PrefillTopKL10topKPerRowILi1024ELi2048ELi2048ELi512EEEvPvPKfPKiS6_PiPfii+0x1d30>
	s_andn2_saveexec_b64 s[16:17], s[16:17]                    // 000000003900: BE902310
	s_cbranch_execz 65530                                      // 000000003904: BF88FFFA <_ZN5aiter11PrefillTopKL10topKPerRowILi1024ELi2048ELi2048ELi512EEEvPvPKfPKiS6_PiPfii+0x1cf0>
	v_lshlrev_b32_sdwa v11, v7, v11 dst_sel:DWORD dst_unused:UNUSED_PAD src0_sel:DWORD src1_sel:WORD_0// 000000003908: 241616F9 04060607
	ds_add_rtn_u32 v11, v11, v2 offset:8192                    // 000000003910: D8402000 0B00020B
	s_waitcnt lgkmcnt(0)                                       // 000000003918: BF8CC07F
	v_add_u32_e32 v14, s29, v11                                // 00000000391C: 681C161D
	s_or_b64 s[18:19], s[18:19], exec                          // 000000003920: 87927E12
	s_or_b64 exec, exec, s[16:17]                              // 000000003924: 87FE107E
	s_and_saveexec_b64 s[16:17], s[18:19]                      // 000000003928: BE902012
	s_cbranch_execz 65449                                      // 00000000392C: BF88FFA9 <_ZN5aiter11PrefillTopKL10topKPerRowILi1024ELi2048ELi2048ELi512EEEvPvPKfPKiS6_PiPfii+0x1bd4>
	v_ashrrev_i32_e32 v15, 31, v14                             // 000000003930: 221E1C9F
	v_lshl_add_u64 v[14:15], v[14:15], 2, s[12:13]             // 000000003934: D208000E 0031050E
	global_store_dword v[14:15], v13, off                      // 00000000393C: DC708000 007F0D0E
	s_branch 65443                                             // 000000003944: BF82FFA3 <_ZN5aiter11PrefillTopKL10topKPerRowILi1024ELi2048ELi2048ELi512EEEvPvPKfPKiS6_PiPfii+0x1bd4>
	s_or_b64 exec, exec, s[0:1]                                // 000000003948: 87FE007E
	s_mov_b64 s[0:1], 0                                        // 00000000394C: BE800180
	s_and_b64 vcc, exec, s[0:1]                                // 000000003950: 86EA007E
	s_cbranch_vccz 252                                         // 000000003954: BF8600FC <_ZN5aiter11PrefillTopKL10topKPerRowILi1024ELi2048ELi2048ELi512EEEvPvPKfPKiS6_PiPfii+0x2148>
	s_and_saveexec_b64 s[0:1], s[24:25]                        // 000000003958: BE802018
	s_cbranch_execz 608                                        // 00000000395C: BF880260 <_ZN5aiter11PrefillTopKL10topKPerRowILi1024ELi2048ELi2048ELi512EEEvPvPKfPKiS6_PiPfii+0x26e0>
	v_lshlrev_b32_e32 v8, 4, v6                                // 000000003960: 24100C84
	v_mov_b32_e32 v9, 0                                        // 000000003964: 7E120280
	s_lshl_b32 s4, s53, 2                                      // 000000003968: 8E048235
	s_add_u32 s4, s6, s4                                       // 00000000396C: 80040406
	s_addc_u32 s5, s7, 0                                       // 000000003970: 82058007
	s_add_u32 s4, s4, s38                                      // 000000003974: 80042604
	s_addc_u32 s5, s5, s39                                     // 000000003978: 82052705
	s_add_u32 s4, s4, s40                                      // 00000000397C: 80042804
	s_addc_u32 s5, s5, s41                                     // 000000003980: 82052905
	v_lshl_add_u64 v[10:11], s[4:5], 0, v[8:9]                 // 000000003984: D208000A 04210004
	v_lshl_add_u32 v5, v6, 2, s53                              // 00000000398C: D1FD0005 00D50506
	s_mov_b64 s[4:5], 0                                        // 000000003994: BE840180
	s_movk_i32 s22, 0x200                                      // 000000003998: B0160200
	v_mov_b32_e32 v7, 1                                        // 00000000399C: 7E0E0281
	s_mov_b64 s[10:11], 0x4000                                 // 0000000039A0: BE8A01FF 00004000
	v_mov_b32_e32 v8, v6                                       // 0000000039A8: 7E100306
	s_branch 11                                                // 0000000039AC: BF82000B <_ZN5aiter11PrefillTopKL10topKPerRowILi1024ELi2048ELi2048ELi512EEEvPvPKfPKiS6_PiPfii+0x1ddc>
	s_or_b64 exec, exec, s[14:15]                              // 0000000039B0: 87FE0E7E
	v_add_u32_e32 v8, 0x400, v8                                // 0000000039B4: 681010FF 00000400
	v_lshl_add_u64 v[10:11], v[10:11], 0, s[10:11]             // 0000000039BC: D208000A 0029010A
	v_cmp_le_u32_e32 vcc, s52, v8                              // 0000000039C4: 7D961034
	s_or_b64 s[4:5], vcc, s[4:5]                               // 0000000039C8: 8784046A
	v_add_u32_e32 v5, 0x1000, v5                               // 0000000039CC: 680A0AFF 00001000
	s_andn2_b64 exec, exec, s[4:5]                             // 0000000039D4: 89FE047E
	s_cbranch_execz 577                                        // 0000000039D8: BF880241 <_ZN5aiter11PrefillTopKL10topKPerRowILi1024ELi2048ELi2048ELi512EEEvPvPKfPKiS6_PiPfii+0x26e0>
	global_load_dwordx4 v[0:3], v[10:11], off                  // 0000000039DC: DC5C8000 007F000A
	s_waitcnt vmcnt(0)                                         // 0000000039E4: BF8C0F70
	v_cvt_f16_f32_e32 v12, v0                                  // 0000000039E8: 7E181500
	v_and_b32_e32 v13, 0x7fff, v12                             // 0000000039EC: 261A18FF 00007FFF
	v_xor_b32_e32 v13, 0x7fe0, v13                             // 0000000039F4: 2A1A1AFF 00007FE0
	v_cmp_gt_f32_e32 vcc, 0, v0                                // 0000000039FC: 7C880080
	s_nop 1                                                    // 000000003A00: BF800001
	v_cndmask_b32_e32 v12, v13, v12, vcc                       // 000000003A04: 0018190D
	v_lshrrev_b16_e32 v12, 5, v12                              // 000000003A08: 56181885
	s_waitcnt lgkmcnt(0)                                       // 000000003A0C: BF8CC07F
	v_cmp_le_i32_e32 vcc, v19, v12                             // 000000003A10: 7D861913
	s_and_saveexec_b64 s[14:15], vcc                           // 000000003A14: BE8E206A
	s_xor_b64 s[14:15], exec, s[14:15]                         // 000000003A18: 888E0E7E
	s_cbranch_execz 27                                         // 000000003A1C: BF88001B <_ZN5aiter11PrefillTopKL10topKPerRowILi1024ELi2048ELi2048ELi512EEEvPvPKfPKiS6_PiPfii+0x1e8c>
	v_cmp_eq_u32_e32 vcc, v19, v12                             // 000000003A20: 7D941913
	s_and_saveexec_b64 s[16:17], vcc                           // 000000003A24: BE90206A
	s_cbranch_execz 23                                         // 000000003A28: BF880017 <_ZN5aiter11PrefillTopKL10topKPerRowILi1024ELi2048ELi2048ELi512EEEvPvPKfPKiS6_PiPfii+0x1e88>
	s_mov_b64 s[20:21], exec                                   // 000000003A2C: BE94017E
	v_mbcnt_lo_u32_b32 v12, s20, 0                             // 000000003A30: D28C000C 00010014
	v_mbcnt_hi_u32_b32 v12, s21, v12                           // 000000003A38: D28D000C 00021815
	v_cmp_eq_u32_e32 vcc, 0, v12                               // 000000003A40: 7D941880
	s_and_saveexec_b64 s[18:19], vcc                           // 000000003A44: BE92206A
	s_cbranch_execz 4                                          // 000000003A48: BF880004 <_ZN5aiter11PrefillTopKL10topKPerRowILi1024ELi2048ELi2048ELi512EEEvPvPKfPKiS6_PiPfii+0x1e5c>
	s_bcnt1_i32_b64 s20, s[20:21]                              // 000000003A4C: BE940D14
	v_mov_b32_e32 v13, s20                                     // 000000003A50: 7E1A0214
	ds_add_rtn_u32 v13, v9, v13 offset:12672                   // 000000003A54: D8403180 0D000D09
	s_or_b64 exec, exec, s[18:19]                              // 000000003A5C: 87FE127E
	s_waitcnt lgkmcnt(0)                                       // 000000003A60: BF8CC07F
	v_readfirstlane_b32 s18, v13                               // 000000003A64: 7E24050D
	s_nop 1                                                    // 000000003A68: BF800001
	v_add_u32_e32 v12, s18, v12                                // 000000003A6C: 68181812
	v_cmp_gt_i32_e32 vcc, s22, v12                             // 000000003A70: 7D881816
	s_and_b64 exec, exec, vcc                                  // 000000003A74: 86FE6A7E
	s_cbranch_execz 3                                          // 000000003A78: BF880003 <_ZN5aiter11PrefillTopKL10topKPerRowILi1024ELi2048ELi2048ELi512EEEvPvPKfPKiS6_PiPfii+0x1e88>
	v_lshlrev_b32_e32 v12, 2, v12                              // 000000003A7C: 24181882
	ds_write2st64_b32 v12, v5, v0 offset0:32 offset1:40        // 000000003A80: D81E2820 0000050C
	s_or_b64 exec, exec, s[16:17]                              // 000000003A88: 87FE107E
	s_andn2_saveexec_b64 s[14:15], s[14:15]                    // 000000003A8C: BE8E230E
	s_cbranch_execz 10                                         // 000000003A90: BF88000A <_ZN5aiter11PrefillTopKL10topKPerRowILi1024ELi2048ELi2048ELi512EEEvPvPKfPKiS6_PiPfii+0x1ebc>
	v_lshlrev_b32_e32 v0, 2, v12                               // 000000003A94: 24001882
	ds_add_rtn_u32 v0, v0, v7                                  // 000000003A98: D8400000 00000700
	s_waitcnt lgkmcnt(0)                                       // 000000003AA0: BF8CC07F
	v_add_u32_e32 v12, s34, v0                                 // 000000003AA4: 68180022
	v_ashrrev_i32_e32 v13, 31, v12                             // 000000003AA8: 221A189F
	v_lshl_add_u64 v[12:13], v[12:13], 2, s[12:13]             // 000000003AAC: D208000C 0031050C
	global_store_dword v[12:13], v5, off                       // 000000003AB4: DC708000 007F050C
	s_or_b64 exec, exec, s[14:15]                              // 000000003ABC: 87FE0E7E
	v_cvt_f16_f32_e32 v12, v1                                  // 000000003AC0: 7E181501
	v_add_u32_e32 v0, 1, v5                                    // 000000003AC4: 68000A81
	v_and_b32_e32 v13, 0x7fff, v12                             // 000000003AC8: 261A18FF 00007FFF
	v_xor_b32_e32 v13, 0x7fe0, v13                             // 000000003AD0: 2A1A1AFF 00007FE0
	v_cmp_gt_f32_e32 vcc, 0, v1                                // 000000003AD8: 7C880280
	s_nop 1                                                    // 000000003ADC: BF800001
	v_cndmask_b32_e32 v12, v13, v12, vcc                       // 000000003AE0: 0018190D
	v_lshrrev_b16_e32 v12, 5, v12                              // 000000003AE4: 56181885
	v_cmp_le_i32_e32 vcc, v19, v12                             // 000000003AE8: 7D861913
	s_and_saveexec_b64 s[14:15], vcc                           // 000000003AEC: BE8E206A
	s_xor_b64 s[14:15], exec, s[14:15]                         // 000000003AF0: 888E0E7E
	s_cbranch_execz 27                                         // 000000003AF4: BF88001B <_ZN5aiter11PrefillTopKL10topKPerRowILi1024ELi2048ELi2048ELi512EEEvPvPKfPKiS6_PiPfii+0x1f64>
	v_cmp_eq_u32_e32 vcc, v19, v12                             // 000000003AF8: 7D941913
	s_and_saveexec_b64 s[16:17], vcc                           // 000000003AFC: BE90206A
	s_cbranch_execz 23                                         // 000000003B00: BF880017 <_ZN5aiter11PrefillTopKL10topKPerRowILi1024ELi2048ELi2048ELi512EEEvPvPKfPKiS6_PiPfii+0x1f60>
	s_mov_b64 s[20:21], exec                                   // 000000003B04: BE94017E
	v_mbcnt_lo_u32_b32 v12, s20, 0                             // 000000003B08: D28C000C 00010014
	v_mbcnt_hi_u32_b32 v12, s21, v12                           // 000000003B10: D28D000C 00021815
	v_cmp_eq_u32_e32 vcc, 0, v12                               // 000000003B18: 7D941880
	s_and_saveexec_b64 s[18:19], vcc                           // 000000003B1C: BE92206A
	s_cbranch_execz 4                                          // 000000003B20: BF880004 <_ZN5aiter11PrefillTopKL10topKPerRowILi1024ELi2048ELi2048ELi512EEEvPvPKfPKiS6_PiPfii+0x1f34>
	s_bcnt1_i32_b64 s20, s[20:21]                              // 000000003B24: BE940D14
	v_mov_b32_e32 v13, s20                                     // 000000003B28: 7E1A0214
	ds_add_rtn_u32 v13, v9, v13 offset:12672                   // 000000003B2C: D8403180 0D000D09
	s_or_b64 exec, exec, s[18:19]                              // 000000003B34: 87FE127E
	s_waitcnt lgkmcnt(0)                                       // 000000003B38: BF8CC07F
	v_readfirstlane_b32 s18, v13                               // 000000003B3C: 7E24050D
	s_nop 1                                                    // 000000003B40: BF800001
	v_add_u32_e32 v12, s18, v12                                // 000000003B44: 68181812
	v_cmp_gt_i32_e32 vcc, s22, v12                             // 000000003B48: 7D881816
	s_and_b64 exec, exec, vcc                                  // 000000003B4C: 86FE6A7E
	s_cbranch_execz 3                                          // 000000003B50: BF880003 <_ZN5aiter11PrefillTopKL10topKPerRowILi1024ELi2048ELi2048ELi512EEEvPvPKfPKiS6_PiPfii+0x1f60>
	v_lshlrev_b32_e32 v12, 2, v12                              // 000000003B54: 24181882
	ds_write2st64_b32 v12, v0, v1 offset0:32 offset1:40        // 000000003B58: D81E2820 0001000C
	s_or_b64 exec, exec, s[16:17]                              // 000000003B60: 87FE107E
	s_andn2_saveexec_b64 s[14:15], s[14:15]                    // 000000003B64: BE8E230E
	s_cbranch_execz 10                                         // 000000003B68: BF88000A <_ZN5aiter11PrefillTopKL10topKPerRowILi1024ELi2048ELi2048ELi512EEEvPvPKfPKiS6_PiPfii+0x1f94>
	v_lshlrev_b32_e32 v1, 2, v12                               // 000000003B6C: 24021882
	ds_add_rtn_u32 v1, v1, v7                                  // 000000003B70: D8400000 01000701
	s_waitcnt lgkmcnt(0)                                       // 000000003B78: BF8CC07F
	v_add_u32_e32 v12, s34, v1                                 // 000000003B7C: 68180222
	v_ashrrev_i32_e32 v13, 31, v12                             // 000000003B80: 221A189F
	v_lshl_add_u64 v[12:13], v[12:13], 2, s[12:13]             // 000000003B84: D208000C 0031050C
	global_store_dword v[12:13], v0, off                       // 000000003B8C: DC708000 007F000C
	s_or_b64 exec, exec, s[14:15]                              // 000000003B94: 87FE0E7E
	v_cvt_f16_f32_e32 v1, v2                                   // 000000003B98: 7E021502
	v_add_u32_e32 v0, 2, v5                                    // 000000003B9C: 68000A82
	v_and_b32_e32 v12, 0x7fff, v1                              // 000000003BA0: 261802FF 00007FFF
	v_xor_b32_e32 v12, 0x7fe0, v12                             // 000000003BA8: 2A1818FF 00007FE0
	v_cmp_gt_f32_e32 vcc, 0, v2                                // 000000003BB0: 7C880480
	s_nop 1                                                    // 000000003BB4: BF800001
	v_cndmask_b32_e32 v1, v12, v1, vcc                         // 000000003BB8: 0002030C
	v_lshrrev_b16_e32 v1, 5, v1                                // 000000003BBC: 56020285
	v_cmp_le_i32_e32 vcc, v19, v1                              // 000000003BC0: 7D860313
	s_and_saveexec_b64 s[14:15], vcc                           // 000000003BC4: BE8E206A
	s_xor_b64 s[14:15], exec, s[14:15]                         // 000000003BC8: 888E0E7E
	s_cbranch_execz 27                                         // 000000003BCC: BF88001B <_ZN5aiter11PrefillTopKL10topKPerRowILi1024ELi2048ELi2048ELi512EEEvPvPKfPKiS6_PiPfii+0x203c>
	v_cmp_eq_u32_e32 vcc, v19, v1                              // 000000003BD0: 7D940313
	s_and_saveexec_b64 s[16:17], vcc                           // 000000003BD4: BE90206A
	s_cbranch_execz 23                                         // 000000003BD8: BF880017 <_ZN5aiter11PrefillTopKL10topKPerRowILi1024ELi2048ELi2048ELi512EEEvPvPKfPKiS6_PiPfii+0x2038>
	s_mov_b64 s[20:21], exec                                   // 000000003BDC: BE94017E
	v_mbcnt_lo_u32_b32 v1, s20, 0                              // 000000003BE0: D28C0001 00010014
	v_mbcnt_hi_u32_b32 v1, s21, v1                             // 000000003BE8: D28D0001 00020215
	v_cmp_eq_u32_e32 vcc, 0, v1                                // 000000003BF0: 7D940280
	s_and_saveexec_b64 s[18:19], vcc                           // 000000003BF4: BE92206A
	s_cbranch_execz 4                                          // 000000003BF8: BF880004 <_ZN5aiter11PrefillTopKL10topKPerRowILi1024ELi2048ELi2048ELi512EEEvPvPKfPKiS6_PiPfii+0x200c>
	s_bcnt1_i32_b64 s20, s[20:21]                              // 000000003BFC: BE940D14
	v_mov_b32_e32 v12, s20                                     // 000000003C00: 7E180214
	ds_add_rtn_u32 v12, v9, v12 offset:12672                   // 000000003C04: D8403180 0C000C09
	s_or_b64 exec, exec, s[18:19]                              // 000000003C0C: 87FE127E
	s_waitcnt lgkmcnt(0)                                       // 000000003C10: BF8CC07F
	v_readfirstlane_b32 s18, v12                               // 000000003C14: 7E24050C
	s_nop 1                                                    // 000000003C18: BF800001
	v_add_u32_e32 v1, s18, v1                                  // 000000003C1C: 68020212
	v_cmp_gt_i32_e32 vcc, s22, v1                              // 000000003C20: 7D880216
	s_and_b64 exec, exec, vcc                                  // 000000003C24: 86FE6A7E
	s_cbranch_execz 3                                          // 000000003C28: BF880003 <_ZN5aiter11PrefillTopKL10topKPerRowILi1024ELi2048ELi2048ELi512EEEvPvPKfPKiS6_PiPfii+0x2038>
	v_lshlrev_b32_e32 v1, 2, v1                                // 000000003C2C: 24020282
	ds_write2st64_b32 v1, v0, v2 offset0:32 offset1:40         // 000000003C30: D81E2820 00020001
	s_or_b64 exec, exec, s[16:17]                              // 000000003C38: 87FE107E
	s_andn2_saveexec_b64 s[14:15], s[14:15]                    // 000000003C3C: BE8E230E
	s_cbranch_execz 10                                         // 000000003C40: BF88000A <_ZN5aiter11PrefillTopKL10topKPerRowILi1024ELi2048ELi2048ELi512EEEvPvPKfPKiS6_PiPfii+0x206c>
	v_lshlrev_b32_e32 v1, 2, v1                                // 000000003C44: 24020282
	ds_add_rtn_u32 v1, v1, v7                                  // 000000003C48: D8400000 01000701
	s_waitcnt lgkmcnt(0)                                       // 000000003C50: BF8CC07F
	v_add_u32_e32 v12, s34, v1                                 // 000000003C54: 68180222
	v_ashrrev_i32_e32 v13, 31, v12                             // 000000003C58: 221A189F
	v_lshl_add_u64 v[12:13], v[12:13], 2, s[12:13]             // 000000003C5C: D208000C 0031050C
	global_store_dword v[12:13], v0, off                       // 000000003C64: DC708000 007F000C
	s_or_b64 exec, exec, s[14:15]                              // 000000003C6C: 87FE0E7E
	v_cvt_f16_f32_e32 v1, v3                                   // 000000003C70: 7E021503
	v_add_u32_e32 v0, 3, v5                                    // 000000003C74: 68000A83
	v_and_b32_e32 v2, 0x7fff, v1                               // 000000003C78: 260402FF 00007FFF
	v_xor_b32_e32 v2, 0x7fe0, v2                               // 000000003C80: 2A0404FF 00007FE0
	v_cmp_gt_f32_e32 vcc, 0, v3                                // 000000003C88: 7C880680
	s_nop 1                                                    // 000000003C8C: BF800001
	v_cndmask_b32_e32 v1, v2, v1, vcc                          // 000000003C90: 00020302
	v_lshrrev_b16_e32 v1, 5, v1                                // 000000003C94: 56020285
	v_cmp_le_i32_e32 vcc, v19, v1                              // 000000003C98: 7D860313
	s_and_saveexec_b64 s[14:15], vcc                           // 000000003C9C: BE8E206A
	s_xor_b64 s[14:15], exec, s[14:15]                         // 000000003CA0: 888E0E7E
	s_cbranch_execz 27                                         // 000000003CA4: BF88001B <_ZN5aiter11PrefillTopKL10topKPerRowILi1024ELi2048ELi2048ELi512EEEvPvPKfPKiS6_PiPfii+0x2114>
	v_cmp_eq_u32_e32 vcc, v19, v1                              // 000000003CA8: 7D940313
	s_and_saveexec_b64 s[16:17], vcc                           // 000000003CAC: BE90206A
	s_cbranch_execz 23                                         // 000000003CB0: BF880017 <_ZN5aiter11PrefillTopKL10topKPerRowILi1024ELi2048ELi2048ELi512EEEvPvPKfPKiS6_PiPfii+0x2110>
	s_mov_b64 s[20:21], exec                                   // 000000003CB4: BE94017E
	v_mbcnt_lo_u32_b32 v1, s20, 0                              // 000000003CB8: D28C0001 00010014
	v_mbcnt_hi_u32_b32 v1, s21, v1                             // 000000003CC0: D28D0001 00020215
	v_cmp_eq_u32_e32 vcc, 0, v1                                // 000000003CC8: 7D940280
	s_and_saveexec_b64 s[18:19], vcc                           // 000000003CCC: BE92206A
	s_cbranch_execz 4                                          // 000000003CD0: BF880004 <_ZN5aiter11PrefillTopKL10topKPerRowILi1024ELi2048ELi2048ELi512EEEvPvPKfPKiS6_PiPfii+0x20e4>
	s_bcnt1_i32_b64 s20, s[20:21]                              // 000000003CD4: BE940D14
	v_mov_b32_e32 v2, s20                                      // 000000003CD8: 7E040214
	ds_add_rtn_u32 v2, v9, v2 offset:12672                     // 000000003CDC: D8403180 02000209
	s_or_b64 exec, exec, s[18:19]                              // 000000003CE4: 87FE127E
	s_waitcnt lgkmcnt(0)                                       // 000000003CE8: BF8CC07F
	v_readfirstlane_b32 s18, v2                                // 000000003CEC: 7E240502
	s_nop 1                                                    // 000000003CF0: BF800001
	v_add_u32_e32 v1, s18, v1                                  // 000000003CF4: 68020212
	v_cmp_gt_i32_e32 vcc, s22, v1                              // 000000003CF8: 7D880216
	s_and_b64 exec, exec, vcc                                  // 000000003CFC: 86FE6A7E
	s_cbranch_execz 3                                          // 000000003D00: BF880003 <_ZN5aiter11PrefillTopKL10topKPerRowILi1024ELi2048ELi2048ELi512EEEvPvPKfPKiS6_PiPfii+0x2110>
	v_lshlrev_b32_e32 v1, 2, v1                                // 000000003D04: 24020282
	ds_write2st64_b32 v1, v0, v3 offset0:32 offset1:40         // 000000003D08: D81E2820 00030001
	s_or_b64 exec, exec, s[16:17]                              // 000000003D10: 87FE107E
	s_andn2_saveexec_b64 s[14:15], s[14:15]                    // 000000003D14: BE8E230E
	s_cbranch_execz 65317                                      // 000000003D18: BF88FF25 <_ZN5aiter11PrefillTopKL10topKPerRowILi1024ELi2048ELi2048ELi512EEEvPvPKfPKiS6_PiPfii+0x1db0>
	v_lshlrev_b32_e32 v1, 2, v1                                // 000000003D1C: 24020282
	ds_add_rtn_u32 v1, v1, v7                                  // 000000003D20: D8400000 01000701
	s_waitcnt lgkmcnt(0)                                       // 000000003D28: BF8CC07F
	v_add_u32_e32 v2, s34, v1                                  // 000000003D2C: 68040222
	v_ashrrev_i32_e32 v3, 31, v2                               // 000000003D30: 2206049F
	v_lshl_add_u64 v[2:3], v[2:3], 2, s[12:13]                 // 000000003D34: D2080002 00310502
	global_store_dword v[2:3], v0, off                         // 000000003D3C: DC708000 007F0002
	s_branch 65306                                             // 000000003D44: BF82FF1A <_ZN5aiter11PrefillTopKL10topKPerRowILi1024ELi2048ELi2048ELi512EEEvPvPKfPKiS6_PiPfii+0x1db0>
	s_mov_b64 s[0:1], 0                                        // 000000003D48: BE800180
	s_andn2_b64 vcc, exec, s[0:1]                              // 000000003D4C: 89EA007E
	s_cbranch_vccnz 195                                        // 000000003D50: BF8700C3 <_ZN5aiter11PrefillTopKL10topKPerRowILi1024ELi2048ELi2048ELi512EEEvPvPKfPKiS6_PiPfii+0x2460>
	s_and_saveexec_b64 s[0:1], s[24:25]                        // 000000003D54: BE802018
	s_cbranch_execz 129                                        // 000000003D58: BF880081 <_ZN5aiter11PrefillTopKL10topKPerRowILi1024ELi2048ELi2048ELi512EEEvPvPKfPKiS6_PiPfii+0x2360>
	v_lshlrev_b32_e32 v0, 4, v6                                // 000000003D5C: 24000C84
	v_mov_b32_e32 v1, 0                                        // 000000003D60: 7E020280
	s_lshl_b32 s4, s53, 2                                      // 000000003D64: 8E048235
	s_add_u32 s4, s6, s4                                       // 000000003D68: 80040406
	s_addc_u32 s5, s7, 0                                       // 000000003D6C: 82058007
	s_add_u32 s4, s4, s38                                      // 000000003D70: 80042604
	s_addc_u32 s5, s5, s39                                     // 000000003D74: 82052705
	s_add_u32 s4, s4, s40                                      // 000000003D78: 80042804
	s_addc_u32 s5, s5, s41                                     // 000000003D7C: 82052905
	v_lshl_add_u64 v[8:9], s[4:5], 0, v[0:1]                   // 000000003D80: D2080008 04010004
	v_lshl_add_u32 v5, v6, 2, s53                              // 000000003D88: D1FD0005 00D50506
	s_mov_b64 s[4:5], 0                                        // 000000003D90: BE840180
	v_mov_b32_e32 v7, 1                                        // 000000003D94: 7E0E0281
	s_mov_b64 s[6:7], 0x4000                                   // 000000003D98: BE8601FF 00004000
	v_mov_b32_e32 v10, v6                                      // 000000003DA0: 7E140306
	s_branch 11                                                // 000000003DA4: BF82000B <_ZN5aiter11PrefillTopKL10topKPerRowILi1024ELi2048ELi2048ELi512EEEvPvPKfPKiS6_PiPfii+0x21d4>
	s_or_b64 exec, exec, s[10:11]                              // 000000003DA8: 87FE0A7E
	v_add_u32_e32 v10, 0x400, v10                              // 000000003DAC: 681414FF 00000400
	v_lshl_add_u64 v[8:9], v[8:9], 0, s[6:7]                   // 000000003DB4: D2080008 00190108
	v_cmp_le_u32_e32 vcc, s52, v10                             // 000000003DBC: 7D961434
	s_or_b64 s[4:5], vcc, s[4:5]                               // 000000003DC0: 8784046A
	v_add_u32_e32 v5, 0x1000, v5                               // 000000003DC4: 680A0AFF 00001000
	s_andn2_b64 exec, exec, s[4:5]                             // 000000003DCC: 89FE047E
	s_cbranch_execz 99                                         // 000000003DD0: BF880063 <_ZN5aiter11PrefillTopKL10topKPerRowILi1024ELi2048ELi2048ELi512EEEvPvPKfPKiS6_PiPfii+0x2360>
	global_load_dwordx4 v[0:3], v[8:9], off                    // 000000003DD4: DC5C8000 007F0008
	s_waitcnt vmcnt(0)                                         // 000000003DDC: BF8C0F70
	v_cvt_f16_f32_e32 v11, v0                                  // 000000003DE0: 7E161500
	v_and_b32_e32 v12, 0x7fff, v11                             // 000000003DE4: 261816FF 00007FFF
	v_xor_b32_e32 v12, 0x7fe0, v12                             // 000000003DEC: 2A1818FF 00007FE0
	v_cmp_gt_f32_e32 vcc, 0, v0                                // 000000003DF4: 7C880080
	s_nop 1                                                    // 000000003DF8: BF800001
	v_cndmask_b32_e32 v0, v12, v11, vcc                        // 000000003DFC: 0000170C
	v_lshrrev_b16_e32 v0, 5, v0                                // 000000003E00: 56000085
	s_waitcnt lgkmcnt(0)                                       // 000000003E04: BF8CC07F
	v_cmp_ge_i32_e32 vcc, v19, v0                              // 000000003E08: 7D8C0113
	s_and_saveexec_b64 s[10:11], vcc                           // 000000003E0C: BE8A206A
	s_cbranch_execz 10                                         // 000000003E10: BF88000A <_ZN5aiter11PrefillTopKL10topKPerRowILi1024ELi2048ELi2048ELi512EEEvPvPKfPKiS6_PiPfii+0x223c>
	v_lshlrev_b32_e32 v0, 2, v0                                // 000000003E14: 24000082
	ds_add_rtn_u32 v0, v0, v7                                  // 000000003E18: D8400000 00000700
	s_waitcnt lgkmcnt(0)                                       // 000000003E20: BF8CC07F
	v_add_u32_e32 v12, s34, v0                                 // 000000003E24: 68180022
	v_ashrrev_i32_e32 v13, 31, v12                             // 000000003E28: 221A189F
	v_lshl_add_u64 v[12:13], v[12:13], 2, s[12:13]             // 000000003E2C: D208000C 0031050C
	global_store_dword v[12:13], v5, off                       // 000000003E34: DC708000 007F050C
	s_or_b64 exec, exec, s[10:11]                              // 000000003E3C: 87FE0A7E
	v_cvt_f16_f32_e32 v0, v1                                   // 000000003E40: 7E001501
	v_and_b32_e32 v11, 0x7fff, v0                              // 000000003E44: 261600FF 00007FFF
	v_xor_b32_e32 v11, 0x7fe0, v11                             // 000000003E4C: 2A1616FF 00007FE0
	v_cmp_gt_f32_e32 vcc, 0, v1                                // 000000003E54: 7C880280
	s_nop 1                                                    // 000000003E58: BF800001
	v_cndmask_b32_e32 v0, v11, v0, vcc                         // 000000003E5C: 0000010B
	v_lshrrev_b16_e32 v0, 5, v0                                // 000000003E60: 56000085
	v_cmp_ge_i32_e32 vcc, v19, v0                              // 000000003E64: 7D8C0113
	s_and_saveexec_b64 s[10:11], vcc                           // 000000003E68: BE8A206A
	s_cbranch_execz 11                                         // 000000003E6C: BF88000B <_ZN5aiter11PrefillTopKL10topKPerRowILi1024ELi2048ELi2048ELi512EEEvPvPKfPKiS6_PiPfii+0x229c>
	v_lshlrev_b32_e32 v0, 2, v0                                // 000000003E70: 24000082
	ds_add_rtn_u32 v0, v0, v7                                  // 000000003E74: D8400000 00000700
	v_add_u32_e32 v11, 1, v5                                   // 000000003E7C: 68160A81
	s_waitcnt lgkmcnt(0)                                       // 000000003E80: BF8CC07F
	v_add_u32_e32 v0, s34, v0                                  // 000000003E84: 68000022
	v_ashrrev_i32_e32 v1, 31, v0                               // 000000003E88: 2202009F
	v_lshl_add_u64 v[0:1], v[0:1], 2, s[12:13]                 // 000000003E8C: D2080000 00310500
	global_store_dword v[0:1], v11, off                        // 000000003E94: DC708000 007F0B00
	s_or_b64 exec, exec, s[10:11]                              // 000000003E9C: 87FE0A7E
	v_cvt_f16_f32_e32 v0, v2                                   // 000000003EA0: 7E001502
	v_and_b32_e32 v1, 0x7fff, v0                               // 000000003EA4: 260200FF 00007FFF
	v_xor_b32_e32 v1, 0x7fe0, v1                               // 000000003EAC: 2A0202FF 00007FE0
	v_cmp_gt_f32_e32 vcc, 0, v2                                // 000000003EB4: 7C880480
	s_nop 1                                                    // 000000003EB8: BF800001
	v_cndmask_b32_e32 v0, v1, v0, vcc                          // 000000003EBC: 00000101
	v_lshrrev_b16_e32 v0, 5, v0                                // 000000003EC0: 56000085
	v_cmp_ge_i32_e32 vcc, v19, v0                              // 000000003EC4: 7D8C0113
	s_and_saveexec_b64 s[10:11], vcc                           // 000000003EC8: BE8A206A
	s_cbranch_execz 11                                         // 000000003ECC: BF88000B <_ZN5aiter11PrefillTopKL10topKPerRowILi1024ELi2048ELi2048ELi512EEEvPvPKfPKiS6_PiPfii+0x22fc>
	v_lshlrev_b32_e32 v0, 2, v0                                // 000000003ED0: 24000082
	ds_add_rtn_u32 v0, v0, v7                                  // 000000003ED4: D8400000 00000700
	v_add_u32_e32 v2, 2, v5                                    // 000000003EDC: 68040A82
	s_waitcnt lgkmcnt(0)                                       // 000000003EE0: BF8CC07F
	v_add_u32_e32 v0, s34, v0                                  // 000000003EE4: 68000022
	v_ashrrev_i32_e32 v1, 31, v0                               // 000000003EE8: 2202009F
	v_lshl_add_u64 v[0:1], v[0:1], 2, s[12:13]                 // 000000003EEC: D2080000 00310500
	global_store_dword v[0:1], v2, off                         // 000000003EF4: DC708000 007F0200
	s_or_b64 exec, exec, s[10:11]                              // 000000003EFC: 87FE0A7E
	v_cvt_f16_f32_e32 v0, v3                                   // 000000003F00: 7E001503
	v_and_b32_e32 v1, 0x7fff, v0                               // 000000003F04: 260200FF 00007FFF
	v_xor_b32_e32 v1, 0x7fe0, v1                               // 000000003F0C: 2A0202FF 00007FE0
	v_cmp_gt_f32_e32 vcc, 0, v3                                // 000000003F14: 7C880680
	s_nop 1                                                    // 000000003F18: BF800001
	v_cndmask_b32_e32 v0, v1, v0, vcc                          // 000000003F1C: 00000101
	v_lshrrev_b16_e32 v0, 5, v0                                // 000000003F20: 56000085
	v_cmp_ge_i32_e32 vcc, v19, v0                              // 000000003F24: 7D8C0113
	s_and_saveexec_b64 s[10:11], vcc                           // 000000003F28: BE8A206A
	s_cbranch_execz 65438                                      // 000000003F2C: BF88FF9E <_ZN5aiter11PrefillTopKL10topKPerRowILi1024ELi2048ELi2048ELi512EEEvPvPKfPKiS6_PiPfii+0x21a8>
	v_lshlrev_b32_e32 v0, 2, v0                                // 000000003F30: 24000082
	ds_add_rtn_u32 v0, v0, v7                                  // 000000003F34: D8400000 00000700
	v_add_u32_e32 v2, 3, v5                                    // 000000003F3C: 68040A83
	s_waitcnt lgkmcnt(0)                                       // 000000003F40: BF8CC07F
	v_add_u32_e32 v0, s34, v0                                  // 000000003F44: 68000022
	v_ashrrev_i32_e32 v1, 31, v0                               // 000000003F48: 2202009F
	v_lshl_add_u64 v[0:1], v[0:1], 2, s[12:13]                 // 000000003F4C: D2080000 00310500
	global_store_dword v[0:1], v2, off                         // 000000003F54: DC708000 007F0200
	s_branch 65426                                             // 000000003F5C: BF82FF92 <_ZN5aiter11PrefillTopKL10topKPerRowILi1024ELi2048ELi2048ELi512EEEvPvPKfPKiS6_PiPfii+0x21a8>
	s_or_b64 exec, exec, s[0:1]                                // 000000003F60: 87FE007E
	s_and_saveexec_b64 s[0:1], s[2:3]                          // 000000003F64: BE802002
	s_cbranch_execz 27                                         // 000000003F68: BF88001B <_ZN5aiter11PrefillTopKL10topKPerRowILi1024ELi2048ELi2048ELi512EEEvPvPKfPKiS6_PiPfii+0x23d8>
	global_load_dword v0, v18, s[36:37]                        // 000000003F6C: DC508000 00240012
	s_waitcnt vmcnt(0)                                         // 000000003F74: BF8C0F70
	v_cvt_f16_f32_e32 v1, v0                                   // 000000003F78: 7E021500
	v_and_b32_e32 v2, 0x7fff, v1                               // 000000003F7C: 260402FF 00007FFF
	v_xor_b32_e32 v2, 0x7fe0, v2                               // 000000003F84: 2A0404FF 00007FE0
	v_cmp_gt_f32_e32 vcc, 0, v0                                // 000000003F8C: 7C880080
	s_nop 1                                                    // 000000003F90: BF800001
	v_cndmask_b32_e32 v0, v2, v1, vcc                          // 000000003F94: 00000302
	v_lshrrev_b16_e32 v0, 5, v0                                // 000000003F98: 56000085
	s_waitcnt lgkmcnt(0)                                       // 000000003F9C: BF8CC07F
	v_cmp_ge_i32_e32 vcc, v19, v0                              // 000000003FA0: 7D8C0113
	s_and_b64 exec, exec, vcc                                  // 000000003FA4: 86FE6A7E
	s_cbranch_execz 11                                         // 000000003FA8: BF88000B <_ZN5aiter11PrefillTopKL10topKPerRowILi1024ELi2048ELi2048ELi512EEEvPvPKfPKiS6_PiPfii+0x23d8>
	v_lshlrev_b32_e32 v0, 2, v0                                // 000000003FAC: 24000082
	v_mov_b32_e32 v1, 1                                        // 000000003FB0: 7E020281
	ds_add_rtn_u32 v0, v0, v1                                  // 000000003FB4: D8400000 00000100
	s_waitcnt lgkmcnt(0)                                       // 000000003FBC: BF8CC07F
	v_add_u32_e32 v0, s34, v0                                  // 000000003FC0: 68000022
	v_ashrrev_i32_e32 v1, 31, v0                               // 000000003FC4: 2202009F
	v_lshl_add_u64 v[0:1], v[0:1], 2, s[12:13]                 // 000000003FC8: D2080000 00310500
	global_store_dword v[0:1], v6, off                         // 000000003FD0: DC708000 007F0600
	s_or_b64 exec, exec, s[0:1]                                // 000000003FD8: 87FE007E
	s_and_saveexec_b64 s[0:1], s[8:9]                          // 000000003FDC: BE802008
	s_cbranch_execz 30                                         // 000000003FE0: BF88001E <_ZN5aiter11PrefillTopKL10topKPerRowILi1024ELi2048ELi2048ELi512EEEvPvPKfPKiS6_PiPfii+0x245c>
	v_ashrrev_i32_e32 v5, 31, v4                               // 000000003FE4: 220A089F
	v_lshl_add_u64 v[0:1], v[4:5], 2, s[36:37]                 // 000000003FE8: D2080000 00910504
	global_load_dword v0, v[0:1], off                          // 000000003FF0: DC508000 007F0000
	s_waitcnt vmcnt(0)                                         // 000000003FF8: BF8C0F70
	v_cvt_f16_f32_e32 v1, v0                                   // 000000003FFC: 7E021500
	v_and_b32_e32 v2, 0x7fff, v1                               // 000000004000: 260402FF 00007FFF
	v_xor_b32_e32 v2, 0x7fe0, v2                               // 000000004008: 2A0404FF 00007FE0
	v_cmp_gt_f32_e32 vcc, 0, v0                                // 000000004010: 7C880080
	s_nop 1                                                    // 000000004014: BF800001
	v_cndmask_b32_e32 v0, v2, v1, vcc                          // 000000004018: 00000302
	v_lshrrev_b16_e32 v0, 5, v0                                // 00000000401C: 56000085
	s_waitcnt lgkmcnt(0)                                       // 000000004020: BF8CC07F
	v_cmp_ge_i32_e32 vcc, v19, v0                              // 000000004024: 7D8C0113
	s_and_b64 exec, exec, vcc                                  // 000000004028: 86FE6A7E
	s_cbranch_execz 11                                         // 00000000402C: BF88000B <_ZN5aiter11PrefillTopKL10topKPerRowILi1024ELi2048ELi2048ELi512EEEvPvPKfPKiS6_PiPfii+0x245c>
	v_lshlrev_b32_e32 v0, 2, v0                                // 000000004030: 24000082
	v_mov_b32_e32 v1, 1                                        // 000000004034: 7E020281
	ds_add_rtn_u32 v0, v0, v1                                  // 000000004038: D8400000 00000100
	s_waitcnt lgkmcnt(0)                                       // 000000004040: BF8CC07F
	v_add_u32_e32 v0, s34, v0                                  // 000000004044: 68000022
	v_ashrrev_i32_e32 v1, 31, v0                               // 000000004048: 2202009F
	v_lshl_add_u64 v[0:1], v[0:1], 2, s[12:13]                 // 00000000404C: D2080000 00310500
	global_store_dword v[0:1], v4, off                         // 000000004054: DC708000 007F0400
	s_or_b64 exec, exec, s[0:1]                                // 00000000405C: 87FE007E
	s_mov_b64 s[8:9], 0                                        // 000000004060: BE880180
	s_and_b64 vcc, exec, s[8:9]                                // 000000004064: 86EA087E
	s_cbranch_vccz 156                                         // 000000004068: BF86009C <_ZN5aiter11PrefillTopKL10topKPerRowILi1024ELi2048ELi2048ELi512EEEvPvPKfPKiS6_PiPfii+0x26dc>
	v_cmp_gt_i32_e32 vcc, s51, v6                              // 00000000406C: 7D880C33
	s_and_saveexec_b64 s[0:1], vcc                             // 000000004070: BE80206A
	s_cbranch_execz 72                                         // 000000004074: BF880048 <_ZN5aiter11PrefillTopKL10topKPerRowILi1024ELi2048ELi2048ELi512EEEvPvPKfPKiS6_PiPfii+0x2598>
	v_xad_u32 v0, v6, -1, s50                                  // 000000004078: D1F30000 00C98306
	v_subrev_u32_e32 v1, s33, v0                               // 000000004080: 6C020021
	s_movk_i32 s2, 0x3ff                                       // 000000004084: B00203FF
	v_cmp_lt_u32_e32 vcc, s2, v1                               // 000000004088: 7D920202
	s_mov_b64 s[4:5], -1                                       // 00000000408C: BE8401C1
	v_mov_b32_e32 v0, v6                                       // 000000004090: 7E000306
	s_and_saveexec_b64 s[2:3], vcc                             // 000000004094: BE82206A
	s_cbranch_execz 41                                         // 000000004098: BF880029 <_ZN5aiter11PrefillTopKL10topKPerRowILi1024ELi2048ELi2048ELi512EEEvPvPKfPKiS6_PiPfii+0x2540>
	v_lshrrev_b32_e32 v0, 10, v1                               // 00000000409C: 2000028A
	v_add_u32_e32 v2, 1, v0                                    // 0000000040A0: 68040081
	v_and_b32_e32 v3, 0x7ffffe, v2                             // 0000000040A4: 260604FF 007FFFFE
	v_or_b32_e32 v7, 0x400, v6                                 // 0000000040AC: 280E0CFF 00000400
	s_mov_b32 s6, s34                                          // 0000000040B4: BE860022
	s_mov_b64 s[4:5], 0                                        // 0000000040B8: BE840180
	v_mov_b32_e32 v4, v3                                       // 0000000040BC: 7E080303
	v_mov_b32_e32 v5, v6                                       // 0000000040C0: 7E0A0306
	v_mov_b64_e32 v[0:1], v[6:7]                               // 0000000040C4: 7E007106
	v_add_u32_e32 v7, 0x400, v5                                // 0000000040C8: 680E0AFF 00000400
	v_add_u32_e32 v8, s34, v0                                  // 0000000040D0: 68100022
	v_add_u32_e32 v10, s6, v1                                  // 0000000040D4: 68140206
	v_add_u32_e32 v1, 0x800, v1                                // 0000000040D8: 680202FF 00000800
	v_add_u32_e32 v0, 0x800, v0                                // 0000000040E0: 680000FF 00000800
	v_add_u32_e32 v4, -2, v4                                   // 0000000040E8: 680808C2
	v_ashrrev_i32_e32 v11, 31, v10                             // 0000000040EC: 2216149F
	v_ashrrev_i32_e32 v9, 31, v8                               // 0000000040F0: 2212109F
	v_cmp_eq_u32_e32 vcc, 0, v4                                // 0000000040F4: 7D940880
	v_lshl_add_u64 v[8:9], v[8:9], 2, s[12:13]                 // 0000000040F8: D2080008 00310508
	v_lshl_add_u64 v[10:11], v[10:11], 2, s[12:13]             // 000000004100: D208000A 0031050A
	s_or_b64 s[4:5], vcc, s[4:5]                               // 000000004108: 8784046A
	global_store_dword v[8:9], v5, off                         // 00000000410C: DC708000 007F0508
	global_store_dword v[10:11], v7, off                       // 000000004114: DC708000 007F070A
	v_add_u32_e32 v5, 0x800, v5                                // 00000000411C: 680A0AFF 00000800
	s_andn2_b64 exec, exec, s[4:5]                             // 000000004124: 89FE047E
	s_cbranch_execnz 65511                                     // 000000004128: BF89FFE7 <_ZN5aiter11PrefillTopKL10topKPerRowILi1024ELi2048ELi2048ELi512EEEvPvPKfPKiS6_PiPfii+0x24c8>
	s_or_b64 exec, exec, s[4:5]                                // 00000000412C: 87FE047E
	v_lshl_or_b32 v0, v3, 10, v6                               // 000000004130: D2000000 04191503
	v_cmp_ne_u32_e32 vcc, v2, v3                               // 000000004138: 7D9A0702
	s_orn2_b64 s[4:5], vcc, exec                               // 00000000413C: 8A847E6A
	s_or_b64 exec, exec, s[2:3]                                // 000000004140: 87FE027E
	s_and_b64 exec, exec, s[4:5]                               // 000000004144: 86FE047E
	s_cbranch_execz 19                                         // 000000004148: BF880013 <_ZN5aiter11PrefillTopKL10topKPerRowILi1024ELi2048ELi2048ELi512EEEvPvPKfPKiS6_PiPfii+0x2598>
	v_ashrrev_i32_e32 v1, 31, v0                               // 00000000414C: 2202009F
	s_ashr_i32 s35, s34, 31                                    // 000000004150: 90239F22
	v_lshl_add_u64 v[2:3], v[0:1], 0, s[34:35]                 // 000000004154: D2080002 00890100
	v_lshl_add_u64 v[2:3], v[2:3], 2, s[12:13]                 // 00000000415C: D2080002 00310502
	s_mov_b64 s[2:3], 0                                        // 000000004164: BE820180
	s_mov_b64 s[4:5], 0x1000                                   // 000000004168: BE8401FF 00001000
	global_store_dword v[2:3], v0, off                         // 000000004170: DC708000 007F0002
	v_add_u32_e32 v0, 0x400, v0                                // 000000004178: 680000FF 00000400
	v_cmp_le_i32_e32 vcc, s51, v0                              // 000000004180: 7D860033
	s_or_b64 s[2:3], vcc, s[2:3]                               // 000000004184: 8782026A
	v_lshl_add_u64 v[2:3], v[2:3], 0, s[4:5]                   // 000000004188: D2080002 00110102
	s_andn2_b64 exec, exec, s[2:3]                             // 000000004190: 89FE027E
	s_cbranch_execnz 65526                                     // 000000004194: BF89FFF6 <_ZN5aiter11PrefillTopKL10topKPerRowILi1024ELi2048ELi2048ELi512EEEvPvPKfPKiS6_PiPfii+0x2570>
	s_or_b64 exec, exec, s[0:1]                                // 000000004198: 87FE007E
	v_add_u32_e32 v0, s51, v6                                  // 00000000419C: 68000C33
	s_movk_i32 s0, 0x800                                       // 0000000041A0: B0000800
	v_cmp_gt_i32_e32 vcc, s0, v0                               // 0000000041A4: 7D880000
	s_and_saveexec_b64 s[0:1], vcc                             // 0000000041A8: BE80206A
	s_cbranch_execz 75                                         // 0000000041AC: BF88004B <_ZN5aiter11PrefillTopKL10topKPerRowILi1024ELi2048ELi2048ELi512EEEvPvPKfPKiS6_PiPfii+0x26dc>
	v_max_i32_e32 v1, 0x400, v0                                // 0000000041B0: 1A0200FF 00000400
	v_add_u32_e32 v1, s33, v1                                  // 0000000041B8: 68020221
	v_add_u32_e32 v2, s50, v6                                  // 0000000041BC: 68040C32
	v_sub_u32_e32 v1, v1, v2                                   // 0000000041C0: 6A020501
	s_movk_i32 s0, 0x3ff                                       // 0000000041C4: B00003FF
	v_add_u32_e32 v1, 0x3ff, v1                                // 0000000041C8: 680202FF 000003FF
	v_cmp_lt_u32_e32 vcc, s0, v1                               // 0000000041D0: 7D920200
	s_mov_b64 s[2:3], -1                                       // 0000000041D4: BE8201C1
	s_and_saveexec_b64 s[0:1], vcc                             // 0000000041D8: BE80206A
	s_cbranch_execz 37                                         // 0000000041DC: BF880025 <_ZN5aiter11PrefillTopKL10topKPerRowILi1024ELi2048ELi2048ELi512EEEvPvPKfPKiS6_PiPfii+0x2674>
	v_lshrrev_b32_e32 v1, 10, v1                               // 0000000041E0: 2002028A
	v_add_u32_e32 v4, 1, v1                                    // 0000000041E4: 68080281
	v_and_b32_e32 v5, 0x7ffffe, v4                             // 0000000041E8: 260A08FF 007FFFFE
	v_add_u32_e32 v1, 0x400, v0                                // 0000000041F0: 680200FF 00000400
	s_mov_b32 s4, s34                                          // 0000000041F8: BE840022
	s_mov_b64 s[2:3], 0                                        // 0000000041FC: BE820180
	v_mov_b32_e32 v6, -1                                       // 000000004200: 7E0C02C1
	v_mov_b32_e32 v7, v5                                       // 000000004204: 7E0E0305
	v_mov_b64_e32 v[2:3], v[0:1]                               // 000000004208: 7E047100
	v_add_u32_e32 v8, s34, v2                                  // 00000000420C: 68100422
	v_add_u32_e32 v10, s4, v3                                  // 000000004210: 68140604
	v_add_u32_e32 v3, 0x800, v3                                // 000000004214: 680606FF 00000800
	v_add_u32_e32 v2, 0x800, v2                                // 00000000421C: 680404FF 00000800
	v_add_u32_e32 v7, -2, v7                                   // 000000004224: 680E0EC2
	v_ashrrev_i32_e32 v11, 31, v10                             // 000000004228: 2216149F
	v_ashrrev_i32_e32 v9, 31, v8                               // 00000000422C: 2212109F
	v_cmp_eq_u32_e32 vcc, 0, v7                                // 000000004230: 7D940E80
	v_lshl_add_u64 v[8:9], v[8:9], 2, s[12:13]                 // 000000004234: D2080008 00310508
	v_lshl_add_u64 v[10:11], v[10:11], 2, s[12:13]             // 00000000423C: D208000A 0031050A
	s_or_b64 s[2:3], vcc, s[2:3]                               // 000000004244: 8782026A
	global_store_dword v[8:9], v6, off                         // 000000004248: DC708000 007F0608
	global_store_dword v[10:11], v6, off                       // 000000004250: DC708000 007F060A
	s_andn2_b64 exec, exec, s[2:3]                             // 000000004258: 89FE027E
	s_cbranch_execnz 65515                                     // 00000000425C: BF89FFEB <_ZN5aiter11PrefillTopKL10topKPerRowILi1024ELi2048ELi2048ELi512EEEvPvPKfPKiS6_PiPfii+0x260c>
	s_or_b64 exec, exec, s[2:3]                                // 000000004260: 87FE027E
	v_lshl_add_u32 v0, v5, 10, v0                              // 000000004264: D1FD0000 04011505
	v_cmp_ne_u32_e32 vcc, v4, v5                               // 00000000426C: 7D9A0B04
	s_orn2_b64 s[2:3], vcc, exec                               // 000000004270: 8A827E6A
	s_or_b64 exec, exec, s[0:1]                                // 000000004274: 87FE007E
	s_and_b64 exec, exec, s[2:3]                               // 000000004278: 86FE027E
	s_cbranch_execz 23                                         // 00000000427C: BF880017 <_ZN5aiter11PrefillTopKL10topKPerRowILi1024ELi2048ELi2048ELi512EEEvPvPKfPKiS6_PiPfii+0x26dc>
	v_add_u32_e32 v2, 0xfffffc00, v0                           // 000000004280: 680400FF FFFFFC00
	v_ashrrev_i32_e32 v1, 31, v0                               // 000000004288: 2202009F
	s_ashr_i32 s35, s34, 31                                    // 00000000428C: 90239F22
	v_lshl_add_u64 v[0:1], v[0:1], 0, s[34:35]                 // 000000004290: D2080000 00890100
	v_lshl_add_u64 v[0:1], v[0:1], 2, s[12:13]                 // 000000004298: D2080000 00310500
	s_mov_b64 s[0:1], 0                                        // 0000000042A0: BE800180
	v_mov_b32_e32 v3, -1                                       // 0000000042A4: 7E0602C1
	s_mov_b64 s[2:3], 0x1000                                   // 0000000042A8: BE8201FF 00001000
	s_movk_i32 s4, 0x3ff                                       // 0000000042B0: B00403FF
	global_store_dword v[0:1], v3, off                         // 0000000042B4: DC708000 007F0300
	v_add_u32_e32 v2, 0x400, v2                                // 0000000042BC: 680404FF 00000400
	v_cmp_lt_i32_e32 vcc, s4, v2                               // 0000000042C4: 7D820404
	s_or_b64 s[0:1], vcc, s[0:1]                               // 0000000042C8: 8780006A
	v_lshl_add_u64 v[0:1], v[0:1], 0, s[2:3]                   // 0000000042CC: D2080000 00090100
	s_andn2_b64 exec, exec, s[0:1]                             // 0000000042D4: 89FE007E
	s_cbranch_execnz 65526                                     // 0000000042D8: BF89FFF6 <_ZN5aiter11PrefillTopKL10topKPerRowILi1024ELi2048ELi2048ELi512EEEvPvPKfPKiS6_PiPfii+0x26b4>
	s_endpgm                                                   // 0000000042DC: BF810000
	s_or_b64 exec, exec, s[0:1]                                // 0000000042E0: 87FE007E
	s_and_saveexec_b64 s[0:1], s[2:3]                          // 0000000042E4: BE802002
	s_cbranch_execz 59                                         // 0000000042E8: BF88003B <_ZN5aiter11PrefillTopKL10topKPerRowILi1024ELi2048ELi2048ELi512EEEvPvPKfPKiS6_PiPfii+0x27d8>
	global_load_dword v0, v18, s[36:37]                        // 0000000042EC: DC508000 00240012
	s_waitcnt vmcnt(0)                                         // 0000000042F4: BF8C0F70
	v_cvt_f16_f32_e32 v1, v0                                   // 0000000042F8: 7E021500
	v_and_b32_e32 v2, 0x7fff, v1                               // 0000000042FC: 260402FF 00007FFF
	v_xor_b32_e32 v2, 0x7fe0, v2                               // 000000004304: 2A0404FF 00007FE0
	v_cmp_gt_f32_e32 vcc, 0, v0                                // 00000000430C: 7C880080
	s_nop 1                                                    // 000000004310: BF800001
	v_cndmask_b32_e32 v1, v2, v1, vcc                          // 000000004314: 00020302
	v_lshrrev_b16_e32 v1, 5, v1                                // 000000004318: 56020285
	s_waitcnt lgkmcnt(0)                                       // 00000000431C: BF8CC07F
	v_cmp_le_i32_e32 vcc, v19, v1                              // 000000004320: 7D860313
	s_and_saveexec_b64 s[4:5], vcc                             // 000000004324: BE84206A
	s_xor_b64 s[4:5], exec, s[4:5]                             // 000000004328: 8884047E
	s_cbranch_execz 29                                         // 00000000432C: BF88001D <_ZN5aiter11PrefillTopKL10topKPerRowILi1024ELi2048ELi2048ELi512EEEvPvPKfPKiS6_PiPfii+0x27a4>
	v_cmp_eq_u32_e32 vcc, v19, v1                              // 000000004330: 7D940313
	s_and_saveexec_b64 s[10:11], vcc                           // 000000004334: BE8A206A
	s_cbranch_execz 25                                         // 000000004338: BF880019 <_ZN5aiter11PrefillTopKL10topKPerRowILi1024ELi2048ELi2048ELi512EEEvPvPKfPKiS6_PiPfii+0x27a0>
	s_mov_b64 s[16:17], exec                                   // 00000000433C: BE90017E
	v_mbcnt_lo_u32_b32 v1, s16, 0                              // 000000004340: D28C0001 00010010
	v_mbcnt_hi_u32_b32 v1, s17, v1                             // 000000004348: D28D0001 00020211
	v_cmp_eq_u32_e32 vcc, 0, v1                                // 000000004350: 7D940280
	s_and_saveexec_b64 s[14:15], vcc                           // 000000004354: BE8E206A
	s_cbranch_execz 5                                          // 000000004358: BF880005 <_ZN5aiter11PrefillTopKL10topKPerRowILi1024ELi2048ELi2048ELi512EEEvPvPKfPKiS6_PiPfii+0x2770>
	s_bcnt1_i32_b64 s16, s[16:17]                              // 00000000435C: BE900D10
	v_mov_b32_e32 v2, 0                                        // 000000004360: 7E040280
	v_mov_b32_e32 v3, s16                                      // 000000004364: 7E060210
	ds_add_rtn_u32 v2, v2, v3 offset:12672                     // 000000004368: D8403180 02000302
	s_or_b64 exec, exec, s[14:15]                              // 000000004370: 87FE0E7E
	s_waitcnt lgkmcnt(0)                                       // 000000004374: BF8CC07F
	v_readfirstlane_b32 s14, v2                                // 000000004378: 7E1C0502
	s_nop 1                                                    // 00000000437C: BF800001
	v_add_u32_e32 v1, s14, v1                                  // 000000004380: 6802020E
	s_movk_i32 s14, 0x200                                      // 000000004384: B00E0200
	v_cmp_gt_i32_e32 vcc, s14, v1                              // 000000004388: 7D88020E
	s_and_b64 exec, exec, vcc                                  // 00000000438C: 86FE6A7E
	s_cbranch_execz 3                                          // 000000004390: BF880003 <_ZN5aiter11PrefillTopKL10topKPerRowILi1024ELi2048ELi2048ELi512EEEvPvPKfPKiS6_PiPfii+0x27a0>
	v_lshlrev_b32_e32 v1, 2, v1                                // 000000004394: 24020282
	ds_write2st64_b32 v1, v6, v0 offset0:32 offset1:40         // 000000004398: D81E2820 00000601
	s_or_b64 exec, exec, s[10:11]                              // 0000000043A0: 87FE0A7E
	s_andn2_saveexec_b64 s[4:5], s[4:5]                        // 0000000043A4: BE842304
	s_cbranch_execz 11                                         // 0000000043A8: BF88000B <_ZN5aiter11PrefillTopKL10topKPerRowILi1024ELi2048ELi2048ELi512EEEvPvPKfPKiS6_PiPfii+0x27d8>
	v_lshlrev_b32_e32 v0, 2, v1                                // 0000000043AC: 24000282
	v_mov_b32_e32 v1, 1                                        // 0000000043B0: 7E020281
	ds_add_rtn_u32 v0, v0, v1                                  // 0000000043B4: D8400000 00000100
	s_waitcnt lgkmcnt(0)                                       // 0000000043BC: BF8CC07F
	v_add_u32_e32 v0, s34, v0                                  // 0000000043C0: 68000022
	v_ashrrev_i32_e32 v1, 31, v0                               // 0000000043C4: 2202009F
	v_lshl_add_u64 v[0:1], v[0:1], 2, s[12:13]                 // 0000000043C8: D2080000 00310500
	global_store_dword v[0:1], v6, off                         // 0000000043D0: DC708000 007F0600
	s_or_b64 exec, exec, s[0:1]                                // 0000000043D8: 87FE007E
	s_and_saveexec_b64 s[0:1], s[8:9]                          // 0000000043DC: BE802008
	s_cbranch_execz 62                                         // 0000000043E0: BF88003E <_ZN5aiter11PrefillTopKL10topKPerRowILi1024ELi2048ELi2048ELi512EEEvPvPKfPKiS6_PiPfii+0x28dc>
	v_ashrrev_i32_e32 v5, 31, v4                               // 0000000043E4: 220A089F
	v_lshl_add_u64 v[0:1], v[4:5], 2, s[36:37]                 // 0000000043E8: D2080000 00910504
	global_load_dword v0, v[0:1], off                          // 0000000043F0: DC508000 007F0000
	s_waitcnt vmcnt(0)                                         // 0000000043F8: BF8C0F70
	v_cvt_f16_f32_e32 v1, v0                                   // 0000000043FC: 7E021500
	v_and_b32_e32 v2, 0x7fff, v1                               // 000000004400: 260402FF 00007FFF
	v_xor_b32_e32 v2, 0x7fe0, v2                               // 000000004408: 2A0404FF 00007FE0
	v_cmp_gt_f32_e32 vcc, 0, v0                                // 000000004410: 7C880080
	s_nop 1                                                    // 000000004414: BF800001
	v_cndmask_b32_e32 v1, v2, v1, vcc                          // 000000004418: 00020302
	v_lshrrev_b16_e32 v1, 5, v1                                // 00000000441C: 56020285
	s_waitcnt lgkmcnt(0)                                       // 000000004420: BF8CC07F
	v_cmp_le_i32_e32 vcc, v19, v1                              // 000000004424: 7D860313
	s_and_saveexec_b64 s[4:5], vcc                             // 000000004428: BE84206A
	s_xor_b64 s[4:5], exec, s[4:5]                             // 00000000442C: 8884047E
	s_cbranch_execz 29                                         // 000000004430: BF88001D <_ZN5aiter11PrefillTopKL10topKPerRowILi1024ELi2048ELi2048ELi512EEEvPvPKfPKiS6_PiPfii+0x28a8>
	v_cmp_eq_u32_e32 vcc, v19, v1                              // 000000004434: 7D940313
	s_and_saveexec_b64 s[10:11], vcc                           // 000000004438: BE8A206A
	s_cbranch_execz 25                                         // 00000000443C: BF880019 <_ZN5aiter11PrefillTopKL10topKPerRowILi1024ELi2048ELi2048ELi512EEEvPvPKfPKiS6_PiPfii+0x28a4>
	s_mov_b64 s[16:17], exec                                   // 000000004440: BE90017E
	v_mbcnt_lo_u32_b32 v1, s16, 0                              // 000000004444: D28C0001 00010010
	v_mbcnt_hi_u32_b32 v1, s17, v1                             // 00000000444C: D28D0001 00020211
	v_cmp_eq_u32_e32 vcc, 0, v1                                // 000000004454: 7D940280
	s_and_saveexec_b64 s[14:15], vcc                           // 000000004458: BE8E206A
	s_cbranch_execz 5                                          // 00000000445C: BF880005 <_ZN5aiter11PrefillTopKL10topKPerRowILi1024ELi2048ELi2048ELi512EEEvPvPKfPKiS6_PiPfii+0x2874>
	s_bcnt1_i32_b64 s16, s[16:17]                              // 000000004460: BE900D10
	v_mov_b32_e32 v2, 0                                        // 000000004464: 7E040280
	v_mov_b32_e32 v3, s16                                      // 000000004468: 7E060210
	ds_add_rtn_u32 v2, v2, v3 offset:12672                     // 00000000446C: D8403180 02000302
	s_or_b64 exec, exec, s[14:15]                              // 000000004474: 87FE0E7E
	s_waitcnt lgkmcnt(0)                                       // 000000004478: BF8CC07F
	v_readfirstlane_b32 s14, v2                                // 00000000447C: 7E1C0502
	s_nop 1                                                    // 000000004480: BF800001
	v_add_u32_e32 v1, s14, v1                                  // 000000004484: 6802020E
	s_movk_i32 s14, 0x200                                      // 000000004488: B00E0200
	v_cmp_gt_i32_e32 vcc, s14, v1                              // 00000000448C: 7D88020E
	s_and_b64 exec, exec, vcc                                  // 000000004490: 86FE6A7E
	s_cbranch_execz 3                                          // 000000004494: BF880003 <_ZN5aiter11PrefillTopKL10topKPerRowILi1024ELi2048ELi2048ELi512EEEvPvPKfPKiS6_PiPfii+0x28a4>
	v_lshlrev_b32_e32 v1, 2, v1                                // 000000004498: 24020282
	ds_write2st64_b32 v1, v4, v0 offset0:32 offset1:40         // 00000000449C: D81E2820 00000401
	s_or_b64 exec, exec, s[10:11]                              // 0000000044A4: 87FE0A7E
	s_andn2_saveexec_b64 s[4:5], s[4:5]                        // 0000000044A8: BE842304
	s_cbranch_execz 11                                         // 0000000044AC: BF88000B <_ZN5aiter11PrefillTopKL10topKPerRowILi1024ELi2048ELi2048ELi512EEEvPvPKfPKiS6_PiPfii+0x28dc>
	v_lshlrev_b32_e32 v0, 2, v1                                // 0000000044B0: 24000282
	v_mov_b32_e32 v1, 1                                        // 0000000044B4: 7E020281
	ds_add_rtn_u32 v0, v0, v1                                  // 0000000044B8: D8400000 00000100
	s_waitcnt lgkmcnt(0)                                       // 0000000044C0: BF8CC07F
	v_add_u32_e32 v0, s34, v0                                  // 0000000044C4: 68000022
	v_ashrrev_i32_e32 v1, 31, v0                               // 0000000044C8: 2202009F
	v_lshl_add_u64 v[0:1], v[0:1], 2, s[12:13]                 // 0000000044CC: D2080000 00310500
	global_store_dword v[0:1], v4, off                         // 0000000044D4: DC708000 007F0400
	s_or_b64 exec, exec, s[0:1]                                // 0000000044DC: 87FE007E
	s_waitcnt lgkmcnt(0)                                       // 0000000044E0: BF8CC07F
	s_barrier                                                  // 0000000044E4: BF8A0000
	s_add_i32 s4, s57, 63                                      // 0000000044E8: 8104BF39
	s_andn2_b32 s4, s4, 63                                     // 0000000044EC: 8904BF04
	s_cmp_gt_i32 s4, 64                                        // 0000000044F0: BF02C004
	s_mov_b64 s[0:1], -1                                       // 0000000044F4: BE8001C1
	s_cbranch_scc0 1513                                        // 0000000044F8: BF8405E9 <_ZN5aiter11PrefillTopKL10topKPerRowILi1024ELi2048ELi2048ELi512EEEvPvPKfPKiS6_PiPfii+0x40a0>
	s_cmpk_gt_u32 s4, 0x80                                     // 0000000044FC: B5040080
	s_cbranch_scc0 1567                                        // 000000004500: BF84061F <_ZN5aiter11PrefillTopKL10topKPerRowILi1024ELi2048ELi2048ELi512EEEvPvPKfPKiS6_PiPfii+0x4180>
	s_cmpk_gt_u32 s4, 0x100                                    // 000000004504: B5040100
	s_cbranch_scc0 1567                                        // 000000004508: BF84061F <_ZN5aiter11PrefillTopKL10topKPerRowILi1024ELi2048ELi2048ELi512EEEvPvPKfPKiS6_PiPfii+0x4188>
	s_movk_i32 s0, 0x200                                       // 00000000450C: B0000200
	v_cmp_gt_u32_e32 vcc, s0, v6                               // 000000004510: 7D980C00
	s_mov_b64 s[30:31], 0                                      // 000000004514: BE9E0180
	s_mov_b64 s[26:27], 0                                      // 000000004518: BE9A0180
	s_and_saveexec_b64 s[42:43], vcc                           // 00000000451C: BEAA206A
	s_cbranch_execz 1501                                       // 000000004520: BF8805DD <_ZN5aiter11PrefillTopKL10topKPerRowILi1024ELi2048ELi2048ELi512EEEvPvPKfPKiS6_PiPfii+0x4098>
	v_cmp_gt_i32_e32 vcc, s57, v6                              // 000000004524: 7D880C39
	v_mov_b32_e32 v1, 0xff7fffff                               // 000000004528: 7E0202FF FF7FFFFF
	s_and_saveexec_b64 s[0:1], vcc                             // 000000004530: BE80206A
	s_cbranch_execz 2                                          // 000000004534: BF880002 <_ZN5aiter11PrefillTopKL10topKPerRowILi1024ELi2048ELi2048ELi512EEEvPvPKfPKiS6_PiPfii+0x2940>
	ds_read_b32 v1, v18 offset:10240                           // 000000004538: D86C2800 01000012
	s_or_b64 exec, exec, s[0:1]                                // 000000004540: 87FE007E
	v_mov_b32_e32 v5, -1                                       // 000000004544: 7E0A02C1
	s_and_saveexec_b64 s[0:1], vcc                             // 000000004548: BE80206A
	s_cbranch_execz 2                                          // 00000000454C: BF880002 <_ZN5aiter11PrefillTopKL10topKPerRowILi1024ELi2048ELi2048ELi512EEEvPvPKfPKiS6_PiPfii+0x2958>
	ds_read_b32 v5, v18 offset:8192                            // 000000004550: D86C2000 05000012
	s_or_b64 exec, exec, s[0:1]                                // 000000004558: 87FE007E
	v_mbcnt_lo_u32_b32 v0, -1, 0                               // 00000000455C: D28C0000 000100C1
	v_mbcnt_hi_u32_b32 v2, -1, v0                              // 000000004564: D28D0002 000200C1
	v_and_b32_e32 v0, 64, v2                                   // 00000000456C: 260004C0
	v_add_u32_e32 v3, 64, v0                                   // 000000004570: 680600C0
	v_xor_b32_e32 v0, 1, v2                                    // 000000004574: 2A000481
	v_cmp_lt_i32_e32 vcc, v0, v3                               // 000000004578: 7D820700
	s_nop 1                                                    // 00000000457C: BF800001
	v_cndmask_b32_e32 v0, v2, v0, vcc                          // 000000004580: 00000102
	v_lshlrev_b32_e32 v0, 2, v0                                // 000000004584: 24000082
	s_waitcnt lgkmcnt(0)                                       // 000000004588: BF8CC07F
	ds_bpermute_b32 v7, v0, v1                                 // 00000000458C: D87E0000 07000100
	ds_bpermute_b32 v8, v0, v5                                 // 000000004594: D87E0000 08000500
	s_mov_b64 s[16:17], -1                                     // 00000000459C: BE9001C1
	s_waitcnt lgkmcnt(1)                                       // 0000000045A0: BF8CC17F
	v_cmp_ngt_f32_e32 vcc, v1, v7                              // 0000000045A4: 7C960F01
	s_mov_b64 s[0:1], -1                                       // 0000000045A8: BE8001C1
	s_and_saveexec_b64 s[4:5], vcc                             // 0000000045AC: BE84206A
	s_cbranch_execz 6                                          // 0000000045B0: BF880006 <_ZN5aiter11PrefillTopKL10topKPerRowILi1024ELi2048ELi2048ELi512EEEvPvPKfPKiS6_PiPfii+0x29cc>
	s_waitcnt lgkmcnt(0)                                       // 0000000045B4: BF8CC07F
	v_cmp_lt_i32_e32 vcc, v8, v5                               // 0000000045B8: 7D820B08
	v_cmp_eq_f32_e64 s[0:1], v1, v7                            // 0000000045BC: D0420000 00020F01
	s_and_b64 s[0:1], vcc, s[0:1]                              // 0000000045C4: 8680006A
	s_orn2_b64 s[0:1], s[0:1], exec                            // 0000000045C8: 8A807E00
	s_or_b64 exec, exec, s[4:5]                                // 0000000045CC: 87FE047E
	v_and_b32_e32 v9, 64, v6                                   // 0000000045D0: 26120CC0
	v_cmp_ne_u32_e32 vcc, 0, v9                                // 0000000045D4: 7D9A1280
	v_and_b32_e32 v9, 2, v6                                    // 0000000045D8: 26120C82
	v_cmp_ne_u32_e64 s[10:11], 0, v9                           // 0000000045DC: D0CD000A 00021280
	v_and_b32_e32 v9, 1, v6                                    // 0000000045E4: 26120C81
	v_cmp_eq_u32_e64 s[4:5], 1, v9                             // 0000000045E8: D0CA0004 00021281
	s_xor_b64 s[0:1], s[10:11], s[0:1]                         // 0000000045F0: 8880000A
	s_xor_b64 s[0:1], s[4:5], s[0:1]                           // 0000000045F4: 88800004
	s_xor_b64 s[0:1], vcc, s[0:1]                              // 0000000045F8: 8880006A
	v_cndmask_b32_e64 v7, v1, v7, s[0:1]                       // 0000000045FC: D1000007 00020F01
	s_waitcnt lgkmcnt(0)                                       // 000000004604: BF8CC07F
	v_cndmask_b32_e64 v5, v5, v8, s[0:1]                       // 000000004608: D1000005 00021105
	v_xor_b32_e32 v1, 2, v2                                    // 000000004610: 2A020482
	v_cmp_lt_i32_e64 s[0:1], v1, v3                            // 000000004614: D0C10000 00020701
	s_nop 1                                                    // 00000000461C: BF800001
	v_cndmask_b32_e64 v1, v2, v1, s[0:1]                       // 000000004620: D1000001 00020302
	v_lshlrev_b32_e32 v1, 2, v1                                // 000000004628: 24020282
	ds_bpermute_b32 v9, v1, v7                                 // 00000000462C: D87E0000 09000701
	ds_bpermute_b32 v8, v1, v5                                 // 000000004634: D87E0000 08000501
	s_waitcnt lgkmcnt(1)                                       // 00000000463C: BF8CC17F
	v_cmp_ngt_f32_e64 s[0:1], v7, v9                           // 000000004640: D04B0000 00021307
	s_and_saveexec_b64 s[14:15], s[0:1]                        // 000000004648: BE8E2000
	s_xor_b64 s[18:19], exec, s[14:15]                         // 00000000464C: 88920E7E
	s_cbranch_execz 7                                          // 000000004650: BF880007 <_ZN5aiter11PrefillTopKL10topKPerRowILi1024ELi2048ELi2048ELi512EEEvPvPKfPKiS6_PiPfii+0x2a70>
	s_waitcnt lgkmcnt(0)                                       // 000000004654: BF8CC07F
	v_cmp_lt_i32_e64 s[0:1], v8, v5                            // 000000004658: D0C10000 00020B08
	v_cmp_eq_f32_e64 s[14:15], v7, v9                          // 000000004660: D042000E 00021307
	s_and_b64 s[0:1], s[0:1], s[14:15]                         // 000000004668: 86800E00
	s_orn2_b64 s[16:17], s[0:1], exec                          // 00000000466C: 8A907E00
	s_or_b64 exec, exec, s[18:19]                              // 000000004670: 87FE127E
	v_and_b32_e32 v10, 4, v6                                   // 000000004674: 26140C84
	v_cmp_ne_u32_e64 s[14:15], 0, v10                          // 000000004678: D0CD000E 00021480
	s_xor_b64 s[20:21], vcc, s[14:15]                          // 000000004680: 88940E6A
	s_xor_b64 s[0:1], s[10:11], s[16:17]                       // 000000004684: 8880100A
	s_xor_b64 s[0:1], s[20:21], s[0:1]                         // 000000004688: 88800014
	v_cndmask_b32_e64 v7, v7, v9, s[0:1]                       // 00000000468C: D1000007 00021307
	ds_bpermute_b32 v9, v0, v7                                 // 000000004694: D87E0000 09000700
	s_waitcnt lgkmcnt(1)                                       // 00000000469C: BF8CC17F
	v_cndmask_b32_e64 v5, v5, v8, s[0:1]                       // 0000000046A0: D1000005 00021105
	ds_bpermute_b32 v10, v0, v5                                // 0000000046A8: D87E0000 0A000500
	s_waitcnt lgkmcnt(1)                                       // 0000000046B0: BF8CC17F
	v_cmp_ngt_f32_e64 s[0:1], v7, v9                           // 0000000046B4: D04B0000 00021307
	s_mov_b64 s[18:19], -1                                     // 0000000046BC: BE9201C1
	s_mov_b64 s[16:17], -1                                     // 0000000046C0: BE9001C1
	s_and_saveexec_b64 s[22:23], s[0:1]                        // 0000000046C4: BE962000
	s_cbranch_execz 7                                          // 0000000046C8: BF880007 <_ZN5aiter11PrefillTopKL10topKPerRowILi1024ELi2048ELi2048ELi512EEEvPvPKfPKiS6_PiPfii+0x2ae8>
	s_waitcnt lgkmcnt(0)                                       // 0000000046CC: BF8CC07F
	v_cmp_lt_i32_e64 s[0:1], v10, v5                           // 0000000046D0: D0C10000 00020B0A
	v_cmp_eq_f32_e64 s[16:17], v7, v9                          // 0000000046D8: D0420010 00021307
	s_and_b64 s[0:1], s[0:1], s[16:17]                         // 0000000046E0: 86801000
	s_orn2_b64 s[16:17], s[0:1], exec                          // 0000000046E4: 8A907E00
	s_or_b64 exec, exec, s[22:23]                              // 0000000046E8: 87FE167E
	s_xor_b64 s[0:1], s[4:5], s[16:17]                         // 0000000046EC: 88801004
	s_xor_b64 s[0:1], s[20:21], s[0:1]                         // 0000000046F0: 88800014
	v_cndmask_b32_e64 v8, v7, v9, s[0:1]                       // 0000000046F4: D1000008 00021307
	s_waitcnt lgkmcnt(0)                                       // 0000000046FC: BF8CC07F
	v_cndmask_b32_e64 v7, v5, v10, s[0:1]                      // 000000004700: D1000007 00021505
	v_xor_b32_e32 v5, 4, v2                                    // 000000004708: 2A0A0484
	v_cmp_lt_i32_e64 s[0:1], v5, v3                            // 00000000470C: D0C10000 00020705
	s_nop 1                                                    // 000000004714: BF800001
	v_cndmask_b32_e64 v5, v2, v5, s[0:1]                       // 000000004718: D1000005 00020B02
	v_lshlrev_b32_e32 v5, 2, v5                                // 000000004720: 240A0A82
	ds_bpermute_b32 v10, v5, v8                                // 000000004724: D87E0000 0A000805
	ds_bpermute_b32 v9, v5, v7                                 // 00000000472C: D87E0000 09000705
	s_waitcnt lgkmcnt(1)                                       // 000000004734: BF8CC17F
	v_cmp_ngt_f32_e64 s[0:1], v8, v10                          // 000000004738: D04B0000 00021508
	s_and_saveexec_b64 s[20:21], s[0:1]                        // 000000004740: BE942000
	s_cbranch_execz 7                                          // 000000004744: BF880007 <_ZN5aiter11PrefillTopKL10topKPerRowILi1024ELi2048ELi2048ELi512EEEvPvPKfPKiS6_PiPfii+0x2b64>
	s_waitcnt lgkmcnt(0)                                       // 000000004748: BF8CC07F
	v_cmp_lt_i32_e64 s[0:1], v9, v7                            // 00000000474C: D0C10000 00020F09
	v_cmp_eq_f32_e64 s[16:17], v8, v10                         // 000000004754: D0420010 00021508
	s_and_b64 s[0:1], s[0:1], s[16:17]                         // 00000000475C: 86801000
	s_orn2_b64 s[18:19], s[0:1], exec                          // 000000004760: 8A927E00
	s_or_b64 exec, exec, s[20:21]                              // 000000004764: 87FE147E
	v_and_b32_e32 v11, 8, v6                                   // 000000004768: 26160C88
	v_cmp_ne_u32_e64 s[16:17], 0, v11                          // 00000000476C: D0CD0010 00021680
	s_xor_b64 s[20:21], vcc, s[16:17]                          // 000000004774: 8894106A
	s_xor_b64 s[0:1], s[14:15], s[18:19]                       // 000000004778: 8880120E
	s_xor_b64 s[0:1], s[20:21], s[0:1]                         // 00000000477C: 88800014
	v_cndmask_b32_e64 v8, v8, v10, s[0:1]                      // 000000004780: D1000008 00021508
	ds_bpermute_b32 v10, v1, v8                                // 000000004788: D87E0000 0A000801
	s_waitcnt lgkmcnt(1)                                       // 000000004790: BF8CC17F
	v_cndmask_b32_e64 v9, v7, v9, s[0:1]                       // 000000004794: D1000009 00021307
	ds_bpermute_b32 v11, v1, v9                                // 00000000479C: D87E0000 0B000901
	s_waitcnt lgkmcnt(1)                                       // 0000000047A4: BF8CC17F
	v_cmp_ngt_f32_e64 s[0:1], v8, v10                          // 0000000047A8: D04B0000 00021508
	s_mov_b64 s[22:23], -1                                     // 0000000047B0: BE9601C1
	s_mov_b64 s[18:19], -1                                     // 0000000047B4: BE9201C1
	s_and_saveexec_b64 s[26:27], s[0:1]                        // 0000000047B8: BE9A2000
	s_cbranch_execz 7                                          // 0000000047BC: BF880007 <_ZN5aiter11PrefillTopKL10topKPerRowILi1024ELi2048ELi2048ELi512EEEvPvPKfPKiS6_PiPfii+0x2bdc>
	s_waitcnt lgkmcnt(0)                                       // 0000000047C0: BF8CC07F
	v_cmp_lt_i32_e64 s[0:1], v11, v9                           // 0000000047C4: D0C10000 0002130B
	v_cmp_eq_f32_e64 s[18:19], v8, v10                         // 0000000047CC: D0420012 00021508
	s_and_b64 s[0:1], s[0:1], s[18:19]                         // 0000000047D4: 86801200
	s_orn2_b64 s[18:19], s[0:1], exec                          // 0000000047D8: 8A927E00
	s_or_b64 exec, exec, s[26:27]                              // 0000000047DC: 87FE1A7E
	s_xor_b64 s[0:1], s[10:11], s[18:19]                       // 0000000047E0: 8880120A
	s_xor_b64 s[0:1], s[20:21], s[0:1]                         // 0000000047E4: 88800014
	v_cndmask_b32_e64 v7, v8, v10, s[0:1]                      // 0000000047E8: D1000007 00021508
	s_waitcnt lgkmcnt(0)                                       // 0000000047F0: BF8CC07F
	v_cndmask_b32_e64 v9, v9, v11, s[0:1]                      // 0000000047F4: D1000009 00021709
	ds_bpermute_b32 v8, v0, v7                                 // 0000000047FC: D87E0000 08000700
	ds_bpermute_b32 v10, v0, v9                                // 000000004804: D87E0000 0A000900
	s_waitcnt lgkmcnt(1)                                       // 00000000480C: BF8CC17F
	v_cmp_ngt_f32_e64 s[0:1], v7, v8                           // 000000004810: D04B0000 00021107
	s_and_saveexec_b64 s[26:27], s[0:1]                        // 000000004818: BE9A2000
	s_cbranch_execz 7                                          // 00000000481C: BF880007 <_ZN5aiter11PrefillTopKL10topKPerRowILi1024ELi2048ELi2048ELi512EEEvPvPKfPKiS6_PiPfii+0x2c3c>
	s_waitcnt lgkmcnt(0)                                       // 000000004820: BF8CC07F
	v_cmp_lt_i32_e64 s[0:1], v10, v9                           // 000000004824: D0C10000 0002130A
	v_cmp_eq_f32_e64 s[18:19], v7, v8                          // 00000000482C: D0420012 00021107
	s_and_b64 s[0:1], s[0:1], s[18:19]                         // 000000004834: 86801200
	s_orn2_b64 s[22:23], s[0:1], exec                          // 000000004838: 8A967E00
	s_or_b64 exec, exec, s[26:27]                              // 00000000483C: 87FE1A7E
	s_xor_b64 s[0:1], s[4:5], s[22:23]                         // 000000004840: 88801604
	s_xor_b64 s[0:1], s[20:21], s[0:1]                         // 000000004844: 88800014
	v_cndmask_b32_e64 v8, v7, v8, s[0:1]                       // 000000004848: D1000008 00021107
	v_xor_b32_e32 v7, 8, v2                                    // 000000004850: 2A0E0488
	v_cmp_lt_i32_e64 s[18:19], v7, v3                          // 000000004854: D0C10012 00020707
	s_nop 1                                                    // 00000000485C: BF800001
	v_cndmask_b32_e64 v7, v2, v7, s[18:19]                     // 000000004860: D1000007 004A0F02
	v_lshlrev_b32_e32 v7, 2, v7                                // 000000004868: 240E0E82
	ds_bpermute_b32 v11, v7, v8                                // 00000000486C: D87E0000 0B000807
	s_waitcnt lgkmcnt(1)                                       // 000000004874: BF8CC17F
	v_cndmask_b32_e64 v9, v9, v10, s[0:1]                      // 000000004878: D1000009 00021509
	ds_bpermute_b32 v10, v7, v9                                // 000000004880: D87E0000 0A000907
	s_waitcnt lgkmcnt(1)                                       // 000000004888: BF8CC17F
	v_cmp_ngt_f32_e64 s[0:1], v8, v11                          // 00000000488C: D04B0000 00021708
	s_mov_b64 s[20:21], -1                                     // 000000004894: BE9401C1
	s_mov_b64 s[18:19], -1                                     // 000000004898: BE9201C1
	s_and_saveexec_b64 s[22:23], s[0:1]                        // 00000000489C: BE962000
	s_cbranch_execz 7                                          // 0000000048A0: BF880007 <_ZN5aiter11PrefillTopKL10topKPerRowILi1024ELi2048ELi2048ELi512EEEvPvPKfPKiS6_PiPfii+0x2cc0>
	s_waitcnt lgkmcnt(0)                                       // 0000000048A4: BF8CC07F
	v_cmp_lt_i32_e64 s[0:1], v10, v9                           // 0000000048A8: D0C10000 0002130A
	v_cmp_eq_f32_e64 s[18:19], v8, v11                         // 0000000048B0: D0420012 00021708
	s_and_b64 s[0:1], s[0:1], s[18:19]                         // 0000000048B8: 86801200
	s_orn2_b64 s[18:19], s[0:1], exec                          // 0000000048BC: 8A927E00
	s_or_b64 exec, exec, s[22:23]                              // 0000000048C0: 87FE167E
	v_and_b32_e32 v12, 16, v6                                  // 0000000048C4: 26180C90
	v_cmp_ne_u32_e64 s[0:1], 0, v12                            // 0000000048C8: D0CD0000 00021880
	s_xor_b64 s[22:23], vcc, s[0:1]                            // 0000000048D0: 8896006A
	s_xor_b64 s[18:19], s[16:17], s[18:19]                     // 0000000048D4: 88921210
	s_xor_b64 s[18:19], s[22:23], s[18:19]                     // 0000000048D8: 88921216
	v_cndmask_b32_e64 v11, v8, v11, s[18:19]                   // 0000000048DC: D100000B 004A1708
	s_waitcnt lgkmcnt(0)                                       // 0000000048E4: BF8CC07F
	v_cndmask_b32_e64 v8, v9, v10, s[18:19]                    // 0000000048E8: D1000008 004A1509
	ds_bpermute_b32 v9, v5, v11                                // 0000000048F0: D87E0000 09000B05
	ds_bpermute_b32 v10, v5, v8                                // 0000000048F8: D87E0000 0A000805
	s_waitcnt lgkmcnt(1)                                       // 000000004900: BF8CC17F
	v_cmp_ngt_f32_e64 s[18:19], v11, v9                        // 000000004904: D04B0012 0002130B
	s_and_saveexec_b64 s[26:27], s[18:19]                      // 00000000490C: BE9A2012
	s_cbranch_execz 7                                          // 000000004910: BF880007 <_ZN5aiter11PrefillTopKL10topKPerRowILi1024ELi2048ELi2048ELi512EEEvPvPKfPKiS6_PiPfii+0x2d30>
	s_waitcnt lgkmcnt(0)                                       // 000000004914: BF8CC07F
	v_cmp_lt_i32_e64 s[18:19], v10, v8                         // 000000004918: D0C10012 0002110A
	v_cmp_eq_f32_e64 s[20:21], v11, v9                         // 000000004920: D0420014 0002130B
	s_and_b64 s[18:19], s[18:19], s[20:21]                     // 000000004928: 86921412
	s_orn2_b64 s[20:21], s[18:19], exec                        // 00000000492C: 8A947E12
	s_or_b64 exec, exec, s[26:27]                              // 000000004930: 87FE1A7E
	s_xor_b64 s[18:19], s[14:15], s[20:21]                     // 000000004934: 8892140E
	s_xor_b64 s[18:19], s[22:23], s[18:19]                     // 000000004938: 88921216
	v_cndmask_b32_e64 v9, v11, v9, s[18:19]                    // 00000000493C: D1000009 004A130B
	ds_bpermute_b32 v11, v1, v9                                // 000000004944: D87E0000 0B000901
	s_waitcnt lgkmcnt(1)                                       // 00000000494C: BF8CC17F
	v_cndmask_b32_e64 v8, v8, v10, s[18:19]                    // 000000004950: D1000008 004A1508
	ds_bpermute_b32 v10, v1, v8                                // 000000004958: D87E0000 0A000801
	s_mov_b64 s[26:27], -1                                     // 000000004960: BE9A01C1
	s_waitcnt lgkmcnt(1)                                       // 000000004964: BF8CC17F
	v_cmp_ngt_f32_e64 s[18:19], v9, v11                        // 000000004968: D04B0012 00021709
	s_mov_b64 s[20:21], -1                                     // 000000004970: BE9401C1
	s_and_saveexec_b64 s[28:29], s[18:19]                      // 000000004974: BE9C2012
	s_cbranch_execz 7                                          // 000000004978: BF880007 <_ZN5aiter11PrefillTopKL10topKPerRowILi1024ELi2048ELi2048ELi512EEEvPvPKfPKiS6_PiPfii+0x2d98>
	s_waitcnt lgkmcnt(0)                                       // 00000000497C: BF8CC07F
	v_cmp_lt_i32_e64 s[18:19], v10, v8                         // 000000004980: D0C10012 0002110A
	v_cmp_eq_f32_e64 s[20:21], v9, v11                         // 000000004988: D0420014 00021709
	s_and_b64 s[18:19], s[18:19], s[20:21]                     // 000000004990: 86921412
	s_orn2_b64 s[20:21], s[18:19], exec                        // 000000004994: 8A947E12
	s_or_b64 exec, exec, s[28:29]                              // 000000004998: 87FE1C7E
	s_xor_b64 s[18:19], s[10:11], s[20:21]                     // 00000000499C: 8892140A
	s_xor_b64 s[18:19], s[22:23], s[18:19]                     // 0000000049A0: 88921216
	v_cndmask_b32_e64 v9, v9, v11, s[18:19]                    // 0000000049A4: D1000009 004A1709
	s_waitcnt lgkmcnt(0)                                       // 0000000049AC: BF8CC07F
	v_cndmask_b32_e64 v10, v8, v10, s[18:19]                   // 0000000049B0: D100000A 004A1508
	ds_bpermute_b32 v8, v0, v9                                 // 0000000049B8: D87E0000 08000900
	ds_bpermute_b32 v11, v0, v10                               // 0000000049C0: D87E0000 0B000A00
	s_waitcnt lgkmcnt(1)                                       // 0000000049C8: BF8CC17F
	v_cmp_ngt_f32_e64 s[18:19], v9, v8                         // 0000000049CC: D04B0012 00021109
	s_and_saveexec_b64 s[28:29], s[18:19]                      // 0000000049D4: BE9C2012
	s_cbranch_execz 7                                          // 0000000049D8: BF880007 <_ZN5aiter11PrefillTopKL10topKPerRowILi1024ELi2048ELi2048ELi512EEEvPvPKfPKiS6_PiPfii+0x2df8>
	s_waitcnt lgkmcnt(0)                                       // 0000000049DC: BF8CC07F
	v_cmp_lt_i32_e64 s[18:19], v11, v10                        // 0000000049E0: D0C10012 0002150B
	v_cmp_eq_f32_e64 s[20:21], v9, v8                          // 0000000049E8: D0420014 00021109
	s_and_b64 s[18:19], s[18:19], s[20:21]                     // 0000000049F0: 86921412
	s_orn2_b64 s[26:27], s[18:19], exec                        // 0000000049F4: 8A9A7E12
	s_or_b64 exec, exec, s[28:29]                              // 0000000049F8: 87FE1C7E
	s_xor_b64 s[18:19], s[4:5], s[26:27]                       // 0000000049FC: 88921A04
	s_xor_b64 s[18:19], s[22:23], s[18:19]                     // 000000004A00: 88921216
	v_cndmask_b32_e64 v9, v9, v8, s[18:19]                     // 000000004A04: D1000009 004A1109
	v_xor_b32_e32 v8, 16, v2                                   // 000000004A0C: 2A100490
	v_cmp_lt_i32_e64 s[20:21], v8, v3                          // 000000004A10: D0C10014 00020708
	s_nop 1                                                    // 000000004A18: BF800001
	v_cndmask_b32_e64 v8, v2, v8, s[20:21]                     // 000000004A1C: D1000008 00521102
	v_lshlrev_b32_e32 v8, 2, v8                                // 000000004A24: 24101082
	ds_bpermute_b32 v12, v8, v9                                // 000000004A28: D87E0000 0C000908
	s_waitcnt lgkmcnt(1)                                       // 000000004A30: BF8CC17F
	v_cndmask_b32_e64 v10, v10, v11, s[18:19]                  // 000000004A34: D100000A 004A170A
	ds_bpermute_b32 v11, v8, v10                               // 000000004A3C: D87E0000 0B000A08
	s_waitcnt lgkmcnt(1)                                       // 000000004A44: BF8CC17F
	v_cmp_ngt_f32_e64 s[18:19], v9, v12                        // 000000004A48: D04B0012 00021909
	s_mov_b64 s[22:23], -1                                     // 000000004A50: BE9601C1
	s_mov_b64 s[20:21], -1                                     // 000000004A54: BE9401C1
	s_and_saveexec_b64 s[26:27], s[18:19]                      // 000000004A58: BE9A2012
	s_cbranch_execz 7                                          // 000000004A5C: BF880007 <_ZN5aiter11PrefillTopKL10topKPerRowILi1024ELi2048ELi2048ELi512EEEvPvPKfPKiS6_PiPfii+0x2e7c>
	s_waitcnt lgkmcnt(0)                                       // 000000004A60: BF8CC07F
	v_cmp_lt_i32_e64 s[18:19], v11, v10                        // 000000004A64: D0C10012 0002150B
	v_cmp_eq_f32_e64 s[20:21], v9, v12                         // 000000004A6C: D0420014 00021909
	s_and_b64 s[18:19], s[18:19], s[20:21]                     // 000000004A74: 86921412
	s_orn2_b64 s[20:21], s[18:19], exec                        // 000000004A78: 8A947E12
	s_or_b64 exec, exec, s[26:27]                              // 000000004A7C: 87FE1A7E
	v_and_b32_e32 v13, 32, v6                                  // 000000004A80: 261A0CA0
	v_cmp_ne_u32_e64 s[18:19], 0, v13                          // 000000004A84: D0CD0012 00021A80
	s_xor_b64 s[26:27], vcc, s[18:19]                          // 000000004A8C: 889A126A
	s_xor_b64 s[20:21], s[0:1], s[20:21]                       // 000000004A90: 88941400
	s_xor_b64 s[20:21], s[26:27], s[20:21]                     // 000000004A94: 8894141A
	v_cndmask_b32_e64 v12, v9, v12, s[20:21]                   // 000000004A98: D100000C 00521909
	s_waitcnt lgkmcnt(0)                                       // 000000004AA0: BF8CC07F
	v_cndmask_b32_e64 v9, v10, v11, s[20:21]                   // 000000004AA4: D1000009 0052170A
	ds_bpermute_b32 v10, v7, v12                               // 000000004AAC: D87E0000 0A000C07
	ds_bpermute_b32 v11, v7, v9                                // 000000004AB4: D87E0000 0B000907
	s_waitcnt lgkmcnt(1)                                       // 000000004ABC: BF8CC17F
	v_cmp_ngt_f32_e64 s[20:21], v12, v10                       // 000000004AC0: D04B0014 0002150C
	s_and_saveexec_b64 s[28:29], s[20:21]                      // 000000004AC8: BE9C2014
	s_cbranch_execz 7                                          // 000000004ACC: BF880007 <_ZN5aiter11PrefillTopKL10topKPerRowILi1024ELi2048ELi2048ELi512EEEvPvPKfPKiS6_PiPfii+0x2eec>
	s_waitcnt lgkmcnt(0)                                       // 000000004AD0: BF8CC07F
	v_cmp_lt_i32_e64 s[20:21], v11, v9                         // 000000004AD4: D0C10014 0002130B
	v_cmp_eq_f32_e64 s[22:23], v12, v10                        // 000000004ADC: D0420016 0002150C
	s_and_b64 s[20:21], s[20:21], s[22:23]                     // 000000004AE4: 86941614
	s_orn2_b64 s[22:23], s[20:21], exec                        // 000000004AE8: 8A967E14
	s_or_b64 exec, exec, s[28:29]                              // 000000004AEC: 87FE1C7E
	s_xor_b64 s[20:21], s[16:17], s[22:23]                     // 000000004AF0: 88941610
	s_xor_b64 s[20:21], s[26:27], s[20:21]                     // 000000004AF4: 8894141A
	v_cndmask_b32_e64 v10, v12, v10, s[20:21]                  // 000000004AF8: D100000A 0052150C
	ds_bpermute_b32 v12, v5, v10                               // 000000004B00: D87E0000 0C000A05
	s_waitcnt lgkmcnt(1)                                       // 000000004B08: BF8CC17F
	v_cndmask_b32_e64 v9, v9, v11, s[20:21]                    // 000000004B0C: D1000009 00521709
	ds_bpermute_b32 v11, v5, v9                                // 000000004B14: D87E0000 0B000905
	s_mov_b64 s[28:29], -1                                     // 000000004B1C: BE9C01C1
	s_waitcnt lgkmcnt(1)                                       // 000000004B20: BF8CC17F
	v_cmp_ngt_f32_e64 s[20:21], v10, v12                       // 000000004B24: D04B0014 0002190A
	s_mov_b64 s[22:23], -1                                     // 000000004B2C: BE9601C1
	s_and_saveexec_b64 s[44:45], s[20:21]                      // 000000004B30: BEAC2014
	s_cbranch_execz 7                                          // 000000004B34: BF880007 <_ZN5aiter11PrefillTopKL10topKPerRowILi1024ELi2048ELi2048ELi512EEEvPvPKfPKiS6_PiPfii+0x2f54>
	s_waitcnt lgkmcnt(0)                                       // 000000004B38: BF8CC07F
	v_cmp_lt_i32_e64 s[20:21], v11, v9                         // 000000004B3C: D0C10014 0002130B
	v_cmp_eq_f32_e64 s[22:23], v10, v12                        // 000000004B44: D0420016 0002190A
	s_and_b64 s[20:21], s[20:21], s[22:23]                     // 000000004B4C: 86941614
	s_orn2_b64 s[22:23], s[20:21], exec                        // 000000004B50: 8A967E14
	s_or_b64 exec, exec, s[44:45]                              // 000000004B54: 87FE2C7E
	s_xor_b64 s[20:21], s[14:15], s[22:23]                     // 000000004B58: 8894160E
	s_xor_b64 s[20:21], s[26:27], s[20:21]                     // 000000004B5C: 8894141A
	v_cndmask_b32_e64 v10, v10, v12, s[20:21]                  // 000000004B60: D100000A 0052190A
	s_waitcnt lgkmcnt(0)                                       // 000000004B68: BF8CC07F
	v_cndmask_b32_e64 v9, v9, v11, s[20:21]                    // 000000004B6C: D1000009 00521709
	ds_bpermute_b32 v12, v1, v10                               // 000000004B74: D87E0000 0C000A01
	ds_bpermute_b32 v11, v1, v9                                // 000000004B7C: D87E0000 0B000901
	s_waitcnt lgkmcnt(1)                                       // 000000004B84: BF8CC17F
	v_cmp_ngt_f32_e64 s[20:21], v10, v12                       // 000000004B88: D04B0014 0002190A
	s_and_saveexec_b64 s[44:45], s[20:21]                      // 000000004B90: BEAC2014
	s_cbranch_execz 7                                          // 000000004B94: BF880007 <_ZN5aiter11PrefillTopKL10topKPerRowILi1024ELi2048ELi2048ELi512EEEvPvPKfPKiS6_PiPfii+0x2fb4>
	s_waitcnt lgkmcnt(0)                                       // 000000004B98: BF8CC07F
	v_cmp_lt_i32_e64 s[20:21], v11, v9                         // 000000004B9C: D0C10014 0002130B
	v_cmp_eq_f32_e64 s[22:23], v10, v12                        // 000000004BA4: D0420016 0002190A
	s_and_b64 s[20:21], s[20:21], s[22:23]                     // 000000004BAC: 86941614
	s_orn2_b64 s[28:29], s[20:21], exec                        // 000000004BB0: 8A9C7E14
	s_or_b64 exec, exec, s[44:45]                              // 000000004BB4: 87FE2C7E
	s_xor_b64 s[20:21], s[10:11], s[28:29]                     // 000000004BB8: 88941C0A
	s_xor_b64 s[20:21], s[26:27], s[20:21]                     // 000000004BBC: 8894141A
	v_cndmask_b32_e64 v10, v10, v12, s[20:21]                  // 000000004BC0: D100000A 0052190A
	ds_bpermute_b32 v12, v0, v10                               // 000000004BC8: D87E0000 0C000A00
	s_waitcnt lgkmcnt(1)                                       // 000000004BD0: BF8CC17F
	v_cndmask_b32_e64 v9, v9, v11, s[20:21]                    // 000000004BD4: D1000009 00521709
	ds_bpermute_b32 v11, v0, v9                                // 000000004BDC: D87E0000 0B000900
	s_mov_b64 s[28:29], -1                                     // 000000004BE4: BE9C01C1
	s_waitcnt lgkmcnt(1)                                       // 000000004BE8: BF8CC17F
	v_cmp_ngt_f32_e64 s[20:21], v10, v12                       // 000000004BEC: D04B0014 0002190A
	s_mov_b64 s[22:23], -1                                     // 000000004BF4: BE9601C1
	s_and_saveexec_b64 s[44:45], s[20:21]                      // 000000004BF8: BEAC2014
	s_cbranch_execz 7                                          // 000000004BFC: BF880007 <_ZN5aiter11PrefillTopKL10topKPerRowILi1024ELi2048ELi2048ELi512EEEvPvPKfPKiS6_PiPfii+0x301c>
	s_waitcnt lgkmcnt(0)                                       // 000000004C00: BF8CC07F
	v_cmp_lt_i32_e64 s[20:21], v11, v9                         // 000000004C04: D0C10014 0002130B
	v_cmp_eq_f32_e64 s[22:23], v10, v12                        // 000000004C0C: D0420016 0002190A
	s_and_b64 s[20:21], s[20:21], s[22:23]                     // 000000004C14: 86941614
	s_orn2_b64 s[22:23], s[20:21], exec                        // 000000004C18: 8A967E14
	s_or_b64 exec, exec, s[44:45]                              // 000000004C1C: 87FE2C7E
	s_xor_b64 s[20:21], s[4:5], s[22:23]                       // 000000004C20: 88941604
	s_xor_b64 s[20:21], s[26:27], s[20:21]                     // 000000004C24: 8894141A
	v_cndmask_b32_e64 v10, v10, v12, s[20:21]                  // 000000004C28: D100000A 0052190A
	s_waitcnt lgkmcnt(0)                                       // 000000004C30: BF8CC07F
	v_cndmask_b32_e64 v9, v9, v11, s[20:21]                    // 000000004C34: D1000009 00521709
	v_xor_b32_e32 v11, 32, v2                                  // 000000004C3C: 2A1604A0
	v_cmp_lt_i32_e64 s[20:21], v11, v3                         // 000000004C40: D0C10014 0002070B
	s_nop 1                                                    // 000000004C48: BF800001
	v_cndmask_b32_e64 v2, v2, v11, s[20:21]                    // 000000004C4C: D1000002 00521702
	v_lshlrev_b32_e32 v3, 2, v2                                // 000000004C54: 24060482
	ds_bpermute_b32 v2, v3, v10                                // 000000004C58: D87E0000 02000A03
	ds_bpermute_b32 v3, v3, v9                                 // 000000004C60: D87E0000 03000903
	s_waitcnt lgkmcnt(1)                                       // 000000004C68: BF8CC17F
	v_cmp_ngt_f32_e64 s[20:21], v10, v2                        // 000000004C6C: D04B0014 0002050A
	s_and_saveexec_b64 s[26:27], s[20:21]                      // 000000004C74: BE9A2014
	s_cbranch_execz 7                                          // 000000004C78: BF880007 <_ZN5aiter11PrefillTopKL10topKPerRowILi1024ELi2048ELi2048ELi512EEEvPvPKfPKiS6_PiPfii+0x3098>
	s_waitcnt lgkmcnt(0)                                       // 000000004C7C: BF8CC07F
	v_cmp_lt_i32_e64 s[20:21], v3, v9                          // 000000004C80: D0C10014 00021303
	v_cmp_eq_f32_e64 s[22:23], v10, v2                         // 000000004C88: D0420016 0002050A
	s_and_b64 s[20:21], s[20:21], s[22:23]                     // 000000004C90: 86941614
	s_orn2_b64 s[28:29], s[20:21], exec                        // 000000004C94: 8A9C7E14
	s_or_b64 exec, exec, s[26:27]                              // 000000004C98: 87FE1A7E
	s_xor_b64 s[18:19], s[18:19], s[28:29]                     // 000000004C9C: 88921C12
	s_xor_b64 s[18:19], vcc, s[18:19]                          // 000000004CA0: 8892126A
	v_cndmask_b32_e64 v2, v10, v2, s[18:19]                    // 000000004CA4: D1000002 004A050A
	ds_bpermute_b32 v10, v8, v2                                // 000000004CAC: D87E0000 0A000208
	s_waitcnt lgkmcnt(1)                                       // 000000004CB4: BF8CC17F
	v_cndmask_b32_e64 v3, v9, v3, s[18:19]                     // 000000004CB8: D1000003 004A0709
	ds_bpermute_b32 v9, v8, v3                                 // 000000004CC0: D87E0000 09000308
	s_mov_b64 s[22:23], -1                                     // 000000004CC8: BE9601C1
	s_waitcnt lgkmcnt(1)                                       // 000000004CCC: BF8CC17F
	v_cmp_ngt_f32_e64 s[18:19], v2, v10                        // 000000004CD0: D04B0012 00021502
	s_mov_b64 s[20:21], -1                                     // 000000004CD8: BE9401C1
	s_and_saveexec_b64 s[26:27], s[18:19]                      // 000000004CDC: BE9A2012
	s_cbranch_execz 7                                          // 000000004CE0: BF880007 <_ZN5aiter11PrefillTopKL10topKPerRowILi1024ELi2048ELi2048ELi512EEEvPvPKfPKiS6_PiPfii+0x3100>
	s_waitcnt lgkmcnt(0)                                       // 000000004CE4: BF8CC07F
	v_cmp_lt_i32_e64 s[18:19], v9, v3                          // 000000004CE8: D0C10012 00020709
	v_cmp_eq_f32_e64 s[20:21], v2, v10                         // 000000004CF0: D0420014 00021502
	s_and_b64 s[18:19], s[18:19], s[20:21]                     // 000000004CF8: 86921412
	s_orn2_b64 s[20:21], s[18:19], exec                        // 000000004CFC: 8A947E12
	s_or_b64 exec, exec, s[26:27]                              // 000000004D00: 87FE1A7E
	s_xor_b64 s[0:1], s[0:1], s[20:21]                         // 000000004D04: 88801400
	s_xor_b64 s[0:1], vcc, s[0:1]                              // 000000004D08: 8880006A
	v_cndmask_b32_e64 v8, v2, v10, s[0:1]                      // 000000004D0C: D1000008 00021502
	s_waitcnt lgkmcnt(0)                                       // 000000004D14: BF8CC07F
	v_cndmask_b32_e64 v2, v3, v9, s[0:1]                       // 000000004D18: D1000002 00021303
	ds_bpermute_b32 v3, v7, v8                                 // 000000004D20: D87E0000 03000807
	ds_bpermute_b32 v7, v7, v2                                 // 000000004D28: D87E0000 07000207
	s_waitcnt lgkmcnt(1)                                       // 000000004D30: BF8CC17F
	v_cmp_ngt_f32_e64 s[0:1], v8, v3                           // 000000004D34: D04B0000 00020708
	s_and_saveexec_b64 s[20:21], s[0:1]                        // 000000004D3C: BE942000
	s_cbranch_execz 7                                          // 000000004D40: BF880007 <_ZN5aiter11PrefillTopKL10topKPerRowILi1024ELi2048ELi2048ELi512EEEvPvPKfPKiS6_PiPfii+0x3160>
	s_waitcnt lgkmcnt(0)                                       // 000000004D44: BF8CC07F
	v_cmp_lt_i32_e64 s[0:1], v7, v2                            // 000000004D48: D0C10000 00020507
	v_cmp_eq_f32_e64 s[18:19], v8, v3                          // 000000004D50: D0420012 00020708
	s_and_b64 s[0:1], s[0:1], s[18:19]                         // 000000004D58: 86801200
	s_orn2_b64 s[22:23], s[0:1], exec                          // 000000004D5C: 8A967E00
	s_or_b64 exec, exec, s[20:21]                              // 000000004D60: 87FE147E
	s_xor_b64 s[0:1], s[16:17], s[22:23]                       // 000000004D64: 88801610
	s_xor_b64 s[0:1], vcc, s[0:1]                              // 000000004D68: 8880006A
	v_cndmask_b32_e64 v3, v8, v3, s[0:1]                       // 000000004D6C: D1000003 00020708
	ds_bpermute_b32 v8, v5, v3                                 // 000000004D74: D87E0000 08000305
	s_waitcnt lgkmcnt(1)                                       // 000000004D7C: BF8CC17F
	v_cndmask_b32_e64 v2, v2, v7, s[0:1]                       // 000000004D80: D1000002 00020F02
	ds_bpermute_b32 v5, v5, v2                                 // 000000004D88: D87E0000 05000205
	s_mov_b64 s[18:19], -1                                     // 000000004D90: BE9201C1
	s_waitcnt lgkmcnt(1)                                       // 000000004D94: BF8CC17F
	v_cmp_ngt_f32_e64 s[0:1], v3, v8                           // 000000004D98: D04B0000 00021103
	s_mov_b64 s[16:17], -1                                     // 000000004DA0: BE9001C1
	s_and_saveexec_b64 s[20:21], s[0:1]                        // 000000004DA4: BE942000
	s_cbranch_execz 7                                          // 000000004DA8: BF880007 <_ZN5aiter11PrefillTopKL10topKPerRowILi1024ELi2048ELi2048ELi512EEEvPvPKfPKiS6_PiPfii+0x31c8>
	s_waitcnt lgkmcnt(0)                                       // 000000004DAC: BF8CC07F
	v_cmp_lt_i32_e64 s[0:1], v5, v2                            // 000000004DB0: D0C10000 00020505
	v_cmp_eq_f32_e64 s[16:17], v3, v8                          // 000000004DB8: D0420010 00021103
	s_and_b64 s[0:1], s[0:1], s[16:17]                         // 000000004DC0: 86801000
	s_orn2_b64 s[16:17], s[0:1], exec                          // 000000004DC4: 8A907E00
	s_or_b64 exec, exec, s[20:21]                              // 000000004DC8: 87FE147E
	s_xor_b64 s[0:1], s[14:15], s[16:17]                       // 000000004DCC: 8880100E
	s_xor_b64 s[0:1], vcc, s[0:1]                              // 000000004DD0: 8880006A
	v_cndmask_b32_e64 v3, v3, v8, s[0:1]                       // 000000004DD4: D1000003 00021103
	s_waitcnt lgkmcnt(0)                                       // 000000004DDC: BF8CC07F
	v_cndmask_b32_e64 v2, v2, v5, s[0:1]                       // 000000004DE0: D1000002 00020B02
	ds_bpermute_b32 v7, v1, v3                                 // 000000004DE8: D87E0000 07000301
	ds_bpermute_b32 v5, v1, v2                                 // 000000004DF0: D87E0000 05000201
	s_waitcnt lgkmcnt(1)                                       // 000000004DF8: BF8CC17F
	v_cmp_ngt_f32_e64 s[0:1], v3, v7                           // 000000004DFC: D04B0000 00020F03
	s_and_saveexec_b64 s[16:17], s[0:1]                        // 000000004E04: BE902000
	s_cbranch_execz 7                                          // 000000004E08: BF880007 <_ZN5aiter11PrefillTopKL10topKPerRowILi1024ELi2048ELi2048ELi512EEEvPvPKfPKiS6_PiPfii+0x3228>
	s_waitcnt lgkmcnt(0)                                       // 000000004E0C: BF8CC07F
	v_cmp_lt_i32_e64 s[0:1], v5, v2                            // 000000004E10: D0C10000 00020505
	v_cmp_eq_f32_e64 s[14:15], v3, v7                          // 000000004E18: D042000E 00020F03
	s_and_b64 s[0:1], s[0:1], s[14:15]                         // 000000004E20: 86800E00
	s_orn2_b64 s[18:19], s[0:1], exec                          // 000000004E24: 8A927E00
	s_or_b64 exec, exec, s[16:17]                              // 000000004E28: 87FE107E
	s_xor_b64 s[0:1], s[10:11], s[18:19]                       // 000000004E2C: 8880120A
	s_xor_b64 s[0:1], vcc, s[0:1]                              // 000000004E30: 8880006A
	v_cndmask_b32_e64 v1, v3, v7, s[0:1]                       // 000000004E34: D1000001 00020F03
	ds_bpermute_b32 v3, v0, v1                                 // 000000004E3C: D87E0000 03000100
	s_waitcnt lgkmcnt(1)                                       // 000000004E44: BF8CC17F
	v_cndmask_b32_e64 v2, v2, v5, s[0:1]                       // 000000004E48: D1000002 00020B02
	ds_bpermute_b32 v0, v0, v2                                 // 000000004E50: D87E0000 00000200
	s_waitcnt lgkmcnt(1)                                       // 000000004E58: BF8CC17F
	v_cmp_ngt_f32_e64 s[0:1], v1, v3                           // 000000004E5C: D04B0000 00020701
	s_mov_b64 s[10:11], -1                                     // 000000004E64: BE8A01C1
	s_and_saveexec_b64 s[14:15], s[0:1]                        // 000000004E68: BE8E2000
	s_cbranch_execz 7                                          // 000000004E6C: BF880007 <_ZN5aiter11PrefillTopKL10topKPerRowILi1024ELi2048ELi2048ELi512EEEvPvPKfPKiS6_PiPfii+0x328c>
	s_waitcnt lgkmcnt(0)                                       // 000000004E70: BF8CC07F
	v_cmp_lt_i32_e64 s[0:1], v0, v2                            // 000000004E74: D0C10000 00020500
	v_cmp_eq_f32_e64 s[10:11], v1, v3                          // 000000004E7C: D042000A 00020701
	s_and_b64 s[0:1], s[0:1], s[10:11]                         // 000000004E84: 86800A00
	s_orn2_b64 s[10:11], s[0:1], exec                          // 000000004E88: 8A8A7E00
	s_or_b64 exec, exec, s[14:15]                              // 000000004E8C: 87FE0E7E
	v_or_b32_e32 v5, 0x2000, v18                               // 000000004E90: 280A24FF 00002000
	s_xor_b64 s[0:1], s[4:5], s[10:11]                         // 000000004E98: 88800A04
	s_xor_b64 vcc, vcc, s[0:1]                                 // 000000004E9C: 88EA006A
	s_waitcnt lgkmcnt(0)                                       // 000000004EA0: BF8CC07F
	v_cndmask_b32_e32 v0, v2, v0, vcc                          // 000000004EA4: 00000102
	v_cndmask_b32_e32 v1, v1, v3, vcc                          // 000000004EA8: 00020701
	ds_write2st64_b32 v18, v0, v1 offset0:32 offset1:40        // 000000004EAC: D81E2820 00010012
	s_waitcnt lgkmcnt(0)                                       // 000000004EB4: BF8CC07F
	s_barrier                                                  // 000000004EB8: BF8A0000
	v_and_b32_e32 v0, 0x80, v6                                 // 000000004EBC: 26000CFF 00000080
	v_cmp_eq_u32_e64 s[0:1], 0, v0                             // 000000004EC4: D0CA0000 00020080
	v_xor_b32_e32 v0, 64, v6                                   // 000000004ECC: 2A000CC0
	v_cmp_gt_u32_e32 vcc, v0, v6                               // 000000004ED0: 7D980D00
	v_lshlrev_b32_e32 v7, 2, v0                                // 000000004ED4: 240E0082
	s_and_saveexec_b64 s[14:15], vcc                           // 000000004ED8: BE8E206A
	s_cbranch_execz 31                                         // 000000004EDC: BF88001F <_ZN5aiter11PrefillTopKL10topKPerRowILi1024ELi2048ELi2048ELi512EEEvPvPKfPKiS6_PiPfii+0x335c>
	ds_read2st64_b32 v[0:1], v5 offset1:8                      // 000000004EE0: D8700800 00000005
	ds_read2st64_b32 v[2:3], v7 offset0:32 offset1:40          // 000000004EE8: D8702820 02000007
	v_or_b32_e32 v8, 0x2000, v7                                // 000000004EF0: 28100EFF 00002000
	s_waitcnt lgkmcnt(0)                                       // 000000004EF8: BF8CC07F
	v_cmp_ngt_f32_e64 s[4:5], v1, v3                           // 000000004EFC: D04B0004 00020701
	s_mov_b64 s[10:11], -1                                     // 000000004F04: BE8A01C1
	s_and_saveexec_b64 s[16:17], s[4:5]                        // 000000004F08: BE902004
	v_cmp_eq_f32_e64 s[4:5], v1, v3                            // 000000004F0C: D0420004 00020701
	v_cmp_gt_i32_e64 s[10:11], v0, v2                          // 000000004F14: D0C4000A 00020500
	s_and_b64 s[4:5], s[4:5], s[10:11]                         // 000000004F1C: 86840A04
	s_orn2_b64 s[10:11], s[4:5], exec                          // 000000004F20: 8A8A7E04
	s_or_b64 exec, exec, s[16:17]                              // 000000004F24: 87FE107E
	s_xor_b64 s[4:5], s[0:1], s[10:11]                         // 000000004F28: 88840A00
	v_cndmask_b32_e64 v9, v1, v3, s[4:5]                       // 000000004F2C: D1000009 00120701
	v_cndmask_b32_e64 v1, v3, v1, s[4:5]                       // 000000004F34: D1000001 00120303
	v_cndmask_b32_e64 v3, v0, v2, s[4:5]                       // 000000004F3C: D1000003 00120500
	ds_write2st64_b32 v5, v3, v9 offset1:8                     // 000000004F44: D81E0800 00090305
	v_cndmask_b32_e64 v0, v2, v0, s[4:5]                       // 000000004F4C: D1000000 00120102
	ds_write2st64_b32 v8, v0, v1 offset1:8                     // 000000004F54: D81E0800 00010008
	s_or_b64 exec, exec, s[14:15]                              // 000000004F5C: 87FE0E7E
	s_waitcnt lgkmcnt(0)                                       // 000000004F60: BF8CC07F
	s_barrier                                                  // 000000004F64: BF8A0000
	v_xor_b32_e32 v0, 32, v6                                   // 000000004F68: 2A000CA0
	v_cmp_gt_u32_e64 s[4:5], v0, v6                            // 000000004F6C: D0CC0004 00020D00
	v_lshlrev_b32_e32 v8, 2, v0                                // 000000004F74: 24100082
	s_and_saveexec_b64 s[16:17], s[4:5]                        // 000000004F78: BE902004
	s_cbranch_execz 31                                         // 000000004F7C: BF88001F <_ZN5aiter11PrefillTopKL10topKPerRowILi1024ELi2048ELi2048ELi512EEEvPvPKfPKiS6_PiPfii+0x33fc>
	ds_read2st64_b32 v[0:1], v5 offset1:8                      // 000000004F80: D8700800 00000005
	ds_read2st64_b32 v[2:3], v8 offset0:32 offset1:40          // 000000004F88: D8702820 02000008
	v_or_b32_e32 v9, 0x2000, v8                                // 000000004F90: 281210FF 00002000
	s_waitcnt lgkmcnt(0)                                       // 000000004F98: BF8CC07F
	v_cmp_ngt_f32_e64 s[10:11], v1, v3                         // 000000004F9C: D04B000A 00020701
	s_mov_b64 s[14:15], -1                                     // 000000004FA4: BE8E01C1
	s_and_saveexec_b64 s[18:19], s[10:11]                      // 000000004FA8: BE92200A
	v_cmp_eq_f32_e64 s[10:11], v1, v3                          // 000000004FAC: D042000A 00020701
	v_cmp_gt_i32_e64 s[14:15], v0, v2                          // 000000004FB4: D0C4000E 00020500
	s_and_b64 s[10:11], s[10:11], s[14:15]                     // 000000004FBC: 868A0E0A
	s_orn2_b64 s[14:15], s[10:11], exec                        // 000000004FC0: 8A8E7E0A
	s_or_b64 exec, exec, s[18:19]                              // 000000004FC4: 87FE127E
	s_xor_b64 s[10:11], s[0:1], s[14:15]                       // 000000004FC8: 888A0E00
	v_cndmask_b32_e64 v10, v1, v3, s[10:11]                    // 000000004FCC: D100000A 002A0701
	v_cndmask_b32_e64 v1, v3, v1, s[10:11]                     // 000000004FD4: D1000001 002A0303
	v_cndmask_b32_e64 v3, v0, v2, s[10:11]                     // 000000004FDC: D1000003 002A0500
	ds_write2st64_b32 v5, v3, v10 offset1:8                    // 000000004FE4: D81E0800 000A0305
	v_cndmask_b32_e64 v0, v2, v0, s[10:11]                     // 000000004FEC: D1000000 002A0102
	ds_write2st64_b32 v9, v0, v1 offset1:8                     // 000000004FF4: D81E0800 00010009
	s_or_b64 exec, exec, s[16:17]                              // 000000004FFC: 87FE107E
	s_waitcnt lgkmcnt(0)                                       // 000000005000: BF8CC07F
	s_barrier                                                  // 000000005004: BF8A0000
	v_xor_b32_e32 v0, 16, v6                                   // 000000005008: 2A000C90
	v_cmp_gt_u32_e64 s[10:11], v0, v6                          // 00000000500C: D0CC000A 00020D00
	v_lshlrev_b32_e32 v9, 2, v0                                // 000000005014: 24120082
	s_and_saveexec_b64 s[18:19], s[10:11]                      // 000000005018: BE92200A
	s_cbranch_execz 31                                         // 00000000501C: BF88001F <_ZN5aiter11PrefillTopKL10topKPerRowILi1024ELi2048ELi2048ELi512EEEvPvPKfPKiS6_PiPfii+0x349c>
	ds_read2st64_b32 v[0:1], v5 offset1:8                      // 000000005020: D8700800 00000005
	ds_read2st64_b32 v[2:3], v9 offset0:32 offset1:40          // 000000005028: D8702820 02000009
	v_or_b32_e32 v10, 0x2000, v9                               // 000000005030: 281412FF 00002000
	s_waitcnt lgkmcnt(0)                                       // 000000005038: BF8CC07F
	v_cmp_ngt_f32_e64 s[14:15], v1, v3                         // 00000000503C: D04B000E 00020701
	s_mov_b64 s[16:17], -1                                     // 000000005044: BE9001C1
	s_and_saveexec_b64 s[20:21], s[14:15]                      // 000000005048: BE94200E
	v_cmp_eq_f32_e64 s[14:15], v1, v3                          // 00000000504C: D042000E 00020701
	v_cmp_gt_i32_e64 s[16:17], v0, v2                          // 000000005054: D0C40010 00020500
	s_and_b64 s[14:15], s[14:15], s[16:17]                     // 00000000505C: 868E100E
	s_orn2_b64 s[16:17], s[14:15], exec                        // 000000005060: 8A907E0E
	s_or_b64 exec, exec, s[20:21]                              // 000000005064: 87FE147E
	s_xor_b64 s[14:15], s[0:1], s[16:17]                       // 000000005068: 888E1000
	v_cndmask_b32_e64 v11, v1, v3, s[14:15]                    // 00000000506C: D100000B 003A0701
	v_cndmask_b32_e64 v1, v3, v1, s[14:15]                     // 000000005074: D1000001 003A0303
	v_cndmask_b32_e64 v3, v0, v2, s[14:15]                     // 00000000507C: D1000003 003A0500
	ds_write2st64_b32 v5, v3, v11 offset1:8                    // 000000005084: D81E0800 000B0305
	v_cndmask_b32_e64 v0, v2, v0, s[14:15]                     // 00000000508C: D1000000 003A0102
	ds_write2st64_b32 v10, v0, v1 offset1:8                    // 000000005094: D81E0800 0001000A
	s_or_b64 exec, exec, s[18:19]                              // 00000000509C: 87FE127E
	s_waitcnt lgkmcnt(0)                                       // 0000000050A0: BF8CC07F
	s_barrier                                                  // 0000000050A4: BF8A0000
	v_xor_b32_e32 v0, 8, v6                                    // 0000000050A8: 2A000C88
	v_cmp_gt_u32_e64 s[14:15], v0, v6                          // 0000000050AC: D0CC000E 00020D00
	v_lshlrev_b32_e32 v10, 2, v0                               // 0000000050B4: 24140082
	s_and_saveexec_b64 s[20:21], s[14:15]                      // 0000000050B8: BE94200E
	s_cbranch_execz 31                                         // 0000000050BC: BF88001F <_ZN5aiter11PrefillTopKL10topKPerRowILi1024ELi2048ELi2048ELi512EEEvPvPKfPKiS6_PiPfii+0x353c>
	ds_read2st64_b32 v[0:1], v5 offset1:8                      // 0000000050C0: D8700800 00000005
	ds_read2st64_b32 v[2:3], v10 offset0:32 offset1:40         // 0000000050C8: D8702820 0200000A
	v_or_b32_e32 v11, 0x2000, v10                              // 0000000050D0: 281614FF 00002000
	s_waitcnt lgkmcnt(0)                                       // 0000000050D8: BF8CC07F
	v_cmp_ngt_f32_e64 s[16:17], v1, v3                         // 0000000050DC: D04B0010 00020701
	s_mov_b64 s[18:19], -1                                     // 0000000050E4: BE9201C1
	s_and_saveexec_b64 s[22:23], s[16:17]                      // 0000000050E8: BE962010
	v_cmp_eq_f32_e64 s[16:17], v1, v3                          // 0000000050EC: D0420010 00020701
	v_cmp_gt_i32_e64 s[18:19], v0, v2                          // 0000000050F4: D0C40012 00020500
	s_and_b64 s[16:17], s[16:17], s[18:19]                     // 0000000050FC: 86901210
	s_orn2_b64 s[18:19], s[16:17], exec                        // 000000005100: 8A927E10
	s_or_b64 exec, exec, s[22:23]                              // 000000005104: 87FE167E
	s_xor_b64 s[16:17], s[0:1], s[18:19]                       // 000000005108: 88901200
	v_cndmask_b32_e64 v12, v1, v3, s[16:17]                    // 00000000510C: D100000C 00420701
	v_cndmask_b32_e64 v1, v3, v1, s[16:17]                     // 000000005114: D1000001 00420303
	v_cndmask_b32_e64 v3, v0, v2, s[16:17]                     // 00000000511C: D1000003 00420500
	ds_write2st64_b32 v5, v3, v12 offset1:8                    // 000000005124: D81E0800 000C0305
	v_cndmask_b32_e64 v0, v2, v0, s[16:17]                     // 00000000512C: D1000000 00420102
	ds_write2st64_b32 v11, v0, v1 offset1:8                    // 000000005134: D81E0800 0001000B
	s_or_b64 exec, exec, s[20:21]                              // 00000000513C: 87FE147E
	s_waitcnt lgkmcnt(0)                                       // 000000005140: BF8CC07F
	s_barrier                                                  // 000000005144: BF8A0000
	v_xor_b32_e32 v0, 4, v6                                    // 000000005148: 2A000C84
	v_cmp_gt_u32_e64 s[16:17], v0, v6                          // 00000000514C: D0CC0010 00020D00
	v_lshlrev_b32_e32 v11, 2, v0                               // 000000005154: 24160082
	s_and_saveexec_b64 s[22:23], s[16:17]                      // 000000005158: BE962010
	s_cbranch_execz 31                                         // 00000000515C: BF88001F <_ZN5aiter11PrefillTopKL10topKPerRowILi1024ELi2048ELi2048ELi512EEEvPvPKfPKiS6_PiPfii+0x35dc>
	ds_read2st64_b32 v[0:1], v5 offset1:8                      // 000000005160: D8700800 00000005
	ds_read2st64_b32 v[2:3], v11 offset0:32 offset1:40         // 000000005168: D8702820 0200000B
	v_or_b32_e32 v12, 0x2000, v11                              // 000000005170: 281816FF 00002000
	s_waitcnt lgkmcnt(0)                                       // 000000005178: BF8CC07F
	v_cmp_ngt_f32_e64 s[18:19], v1, v3                         // 00000000517C: D04B0012 00020701
	s_mov_b64 s[20:21], -1                                     // 000000005184: BE9401C1
	s_and_saveexec_b64 s[26:27], s[18:19]                      // 000000005188: BE9A2012
	v_cmp_eq_f32_e64 s[18:19], v1, v3                          // 00000000518C: D0420012 00020701
	v_cmp_gt_i32_e64 s[20:21], v0, v2                          // 000000005194: D0C40014 00020500
	s_and_b64 s[18:19], s[18:19], s[20:21]                     // 00000000519C: 86921412
	s_orn2_b64 s[20:21], s[18:19], exec                        // 0000000051A0: 8A947E12
	s_or_b64 exec, exec, s[26:27]                              // 0000000051A4: 87FE1A7E
	s_xor_b64 s[18:19], s[0:1], s[20:21]                       // 0000000051A8: 88921400
	v_cndmask_b32_e64 v13, v1, v3, s[18:19]                    // 0000000051AC: D100000D 004A0701
	v_cndmask_b32_e64 v1, v3, v1, s[18:19]                     // 0000000051B4: D1000001 004A0303
	v_cndmask_b32_e64 v3, v0, v2, s[18:19]                     // 0000000051BC: D1000003 004A0500
	ds_write2st64_b32 v5, v3, v13 offset1:8                    // 0000000051C4: D81E0800 000D0305
	v_cndmask_b32_e64 v0, v2, v0, s[18:19]                     // 0000000051CC: D1000000 004A0102
	ds_write2st64_b32 v12, v0, v1 offset1:8                    // 0000000051D4: D81E0800 0001000C
	s_or_b64 exec, exec, s[22:23]                              // 0000000051DC: 87FE167E
	s_waitcnt lgkmcnt(0)                                       // 0000000051E0: BF8CC07F
	s_barrier                                                  // 0000000051E4: BF8A0000
	v_xor_b32_e32 v0, 2, v6                                    // 0000000051E8: 2A000C82
	v_cmp_gt_u32_e64 s[18:19], v0, v6                          // 0000000051EC: D0CC0012 00020D00
	v_lshlrev_b32_e32 v12, 2, v0                               // 0000000051F4: 24180082
	s_and_saveexec_b64 s[26:27], s[18:19]                      // 0000000051F8: BE9A2012
	s_cbranch_execz 31                                         // 0000000051FC: BF88001F <_ZN5aiter11PrefillTopKL10topKPerRowILi1024ELi2048ELi2048ELi512EEEvPvPKfPKiS6_PiPfii+0x367c>
	ds_read2st64_b32 v[0:1], v5 offset1:8                      // 000000005200: D8700800 00000005
	ds_read2st64_b32 v[2:3], v12 offset0:32 offset1:40         // 000000005208: D8702820 0200000C
	v_or_b32_e32 v13, 0x2000, v12                              // 000000005210: 281A18FF 00002000
	s_waitcnt lgkmcnt(0)                                       // 000000005218: BF8CC07F
	v_cmp_ngt_f32_e64 s[20:21], v1, v3                         // 00000000521C: D04B0014 00020701
	s_mov_b64 s[22:23], -1                                     // 000000005224: BE9601C1
	s_and_saveexec_b64 s[28:29], s[20:21]                      // 000000005228: BE9C2014
	v_cmp_eq_f32_e64 s[20:21], v1, v3                          // 00000000522C: D0420014 00020701
	v_cmp_gt_i32_e64 s[22:23], v0, v2                          // 000000005234: D0C40016 00020500
	s_and_b64 s[20:21], s[20:21], s[22:23]                     // 00000000523C: 86941614
	s_orn2_b64 s[22:23], s[20:21], exec                        // 000000005240: 8A967E14
	s_or_b64 exec, exec, s[28:29]                              // 000000005244: 87FE1C7E
	s_xor_b64 s[20:21], s[0:1], s[22:23]                       // 000000005248: 88941600
	v_cndmask_b32_e64 v14, v1, v3, s[20:21]                    // 00000000524C: D100000E 00520701
	v_cndmask_b32_e64 v1, v3, v1, s[20:21]                     // 000000005254: D1000001 00520303
	v_cndmask_b32_e64 v3, v0, v2, s[20:21]                     // 00000000525C: D1000003 00520500
	ds_write2st64_b32 v5, v3, v14 offset1:8                    // 000000005264: D81E0800 000E0305
	v_cndmask_b32_e64 v0, v2, v0, s[20:21]                     // 00000000526C: D1000000 00520102
	ds_write2st64_b32 v13, v0, v1 offset1:8                    // 000000005274: D81E0800 0001000D
	s_or_b64 exec, exec, s[26:27]                              // 00000000527C: 87FE1A7E
	s_waitcnt lgkmcnt(0)                                       // 000000005280: BF8CC07F
	s_barrier                                                  // 000000005284: BF8A0000
	v_xor_b32_e32 v0, 1, v6                                    // 000000005288: 2A000C81
	v_cmp_gt_u32_e64 s[20:21], v0, v6                          // 00000000528C: D0CC0014 00020D00
	v_lshlrev_b32_e32 v13, 2, v0                               // 000000005294: 241A0082
	s_and_saveexec_b64 s[28:29], s[20:21]                      // 000000005298: BE9C2014
	s_cbranch_execz 31                                         // 00000000529C: BF88001F <_ZN5aiter11PrefillTopKL10topKPerRowILi1024ELi2048ELi2048ELi512EEEvPvPKfPKiS6_PiPfii+0x371c>
	ds_read2st64_b32 v[0:1], v5 offset1:8                      // 0000000052A0: D8700800 00000005
	ds_read2st64_b32 v[2:3], v13 offset0:32 offset1:40         // 0000000052A8: D8702820 0200000D
	v_or_b32_e32 v14, 0x2000, v13                              // 0000000052B0: 281C1AFF 00002000
	s_waitcnt lgkmcnt(0)                                       // 0000000052B8: BF8CC07F
	v_cmp_ngt_f32_e64 s[22:23], v1, v3                         // 0000000052BC: D04B0016 00020701
	s_mov_b64 s[26:27], -1                                     // 0000000052C4: BE9A01C1
	s_and_saveexec_b64 s[44:45], s[22:23]                      // 0000000052C8: BEAC2016
	v_cmp_eq_f32_e64 s[22:23], v1, v3                          // 0000000052CC: D0420016 00020701
	v_cmp_gt_i32_e64 s[26:27], v0, v2                          // 0000000052D4: D0C4001A 00020500
	s_and_b64 s[22:23], s[22:23], s[26:27]                     // 0000000052DC: 86961A16
	s_orn2_b64 s[26:27], s[22:23], exec                        // 0000000052E0: 8A9A7E16
	s_or_b64 exec, exec, s[44:45]                              // 0000000052E4: 87FE2C7E
	s_xor_b64 s[0:1], s[0:1], s[26:27]                         // 0000000052E8: 88801A00
	v_cndmask_b32_e64 v15, v1, v3, s[0:1]                      // 0000000052EC: D100000F 00020701
	v_cndmask_b32_e64 v1, v3, v1, s[0:1]                       // 0000000052F4: D1000001 00020303
	v_cndmask_b32_e64 v3, v0, v2, s[0:1]                       // 0000000052FC: D1000003 00020500
	ds_write2st64_b32 v5, v3, v15 offset1:8                    // 000000005304: D81E0800 000F0305
	v_cndmask_b32_e64 v0, v2, v0, s[0:1]                       // 00000000530C: D1000000 00020102
	ds_write2st64_b32 v14, v0, v1 offset1:8                    // 000000005314: D81E0800 0001000E
	s_or_b64 exec, exec, s[28:29]                              // 00000000531C: 87FE1C7E
	s_waitcnt lgkmcnt(0)                                       // 000000005320: BF8CC07F
	s_barrier                                                  // 000000005324: BF8A0000
	s_movk_i32 s0, 0x100                                       // 000000005328: B0000100
	v_cmp_gt_u32_e64 s[0:1], s0, v6                            // 00000000532C: D0CC0000 00020C00
	v_xor_b32_e32 v0, 0x80, v6                                 // 000000005334: 2A000CFF 00000080
	v_cmp_gt_u32_e64 s[22:23], v0, v6                          // 00000000533C: D0CC0016 00020D00
	v_lshlrev_b32_e32 v14, 2, v0                               // 000000005344: 241C0082
	s_and_saveexec_b64 s[26:27], s[22:23]                      // 000000005348: BE9A2016
	s_xor_b64 s[44:45], exec, s[26:27]                         // 00000000534C: 88AC1A7E
	s_cbranch_execz 31                                         // 000000005350: BF88001F <_ZN5aiter11PrefillTopKL10topKPerRowILi1024ELi2048ELi2048ELi512EEEvPvPKfPKiS6_PiPfii+0x37d0>
	ds_read2st64_b32 v[0:1], v5 offset1:8                      // 000000005354: D8700800 00000005
	ds_read2st64_b32 v[2:3], v14 offset0:32 offset1:40         // 00000000535C: D8702820 0200000E
	v_or_b32_e32 v15, 0x2000, v14                              // 000000005364: 281E1CFF 00002000
	s_waitcnt lgkmcnt(0)                                       // 00000000536C: BF8CC07F
	v_cmp_ngt_f32_e64 s[26:27], v1, v3                         // 000000005370: D04B001A 00020701
	s_mov_b64 s[28:29], -1                                     // 000000005378: BE9C01C1
	s_and_saveexec_b64 s[46:47], s[26:27]                      // 00000000537C: BEAE201A
	v_cmp_eq_f32_e64 s[26:27], v1, v3                          // 000000005380: D042001A 00020701
	v_cmp_gt_i32_e64 s[28:29], v0, v2                          // 000000005388: D0C4001C 00020500
	s_and_b64 s[26:27], s[26:27], s[28:29]                     // 000000005390: 869A1C1A
	s_orn2_b64 s[28:29], s[26:27], exec                        // 000000005394: 8A9C7E1A
	s_or_b64 exec, exec, s[46:47]                              // 000000005398: 87FE2E7E
	s_xor_b64 s[26:27], s[0:1], s[28:29]                       // 00000000539C: 889A1C00
	v_cndmask_b32_e64 v16, v1, v3, s[26:27]                    // 0000000053A0: D1000010 006A0701
	v_cndmask_b32_e64 v1, v3, v1, s[26:27]                     // 0000000053A8: D1000001 006A0303
	v_cndmask_b32_e64 v3, v0, v2, s[26:27]                     // 0000000053B0: D1000003 006A0500
	ds_write2st64_b32 v5, v3, v16 offset1:8                    // 0000000053B8: D81E0800 00100305
	v_cndmask_b32_e64 v0, v2, v0, s[26:27]                     // 0000000053C0: D1000000 006A0102
	ds_write2st64_b32 v15, v0, v1 offset1:8                    // 0000000053C8: D81E0800 0001000F
	s_or_b64 exec, exec, s[44:45]                              // 0000000053D0: 87FE2C7E
	s_waitcnt lgkmcnt(0)                                       // 0000000053D4: BF8CC07F
	s_barrier                                                  // 0000000053D8: BF8A0000
	s_and_saveexec_b64 s[44:45], vcc                           // 0000000053DC: BEAC206A
	s_cbranch_execz 31                                         // 0000000053E0: BF88001F <_ZN5aiter11PrefillTopKL10topKPerRowILi1024ELi2048ELi2048ELi512EEEvPvPKfPKiS6_PiPfii+0x3860>
	ds_read2st64_b32 v[0:1], v5 offset1:8                      // 0000000053E4: D8700800 00000005
	ds_read2st64_b32 v[2:3], v7 offset0:32 offset1:40          // 0000000053EC: D8702820 02000007
	v_or_b32_e32 v15, 0x2000, v7                               // 0000000053F4: 281E0EFF 00002000
	s_waitcnt lgkmcnt(0)                                       // 0000000053FC: BF8CC07F
	v_cmp_ngt_f32_e64 s[26:27], v1, v3                         // 000000005400: D04B001A 00020701
	s_mov_b64 s[28:29], -1                                     // 000000005408: BE9C01C1
	s_and_saveexec_b64 s[46:47], s[26:27]                      // 00000000540C: BEAE201A
	v_cmp_eq_f32_e64 s[26:27], v1, v3                          // 000000005410: D042001A 00020701
	v_cmp_gt_i32_e64 s[28:29], v0, v2                          // 000000005418: D0C4001C 00020500
	s_and_b64 s[26:27], s[26:27], s[28:29]                     // 000000005420: 869A1C1A
	s_orn2_b64 s[28:29], s[26:27], exec                        // 000000005424: 8A9C7E1A
	s_or_b64 exec, exec, s[46:47]                              // 000000005428: 87FE2E7E
	s_xor_b64 s[26:27], s[0:1], s[28:29]                       // 00000000542C: 889A1C00
	v_cndmask_b32_e64 v16, v1, v3, s[26:27]                    // 000000005430: D1000010 006A0701
	v_cndmask_b32_e64 v1, v3, v1, s[26:27]                     // 000000005438: D1000001 006A0303
	v_cndmask_b32_e64 v3, v0, v2, s[26:27]                     // 000000005440: D1000003 006A0500
	ds_write2st64_b32 v5, v3, v16 offset1:8                    // 000000005448: D81E0800 00100305
	v_cndmask_b32_e64 v0, v2, v0, s[26:27]                     // 000000005450: D1000000 006A0102
	ds_write2st64_b32 v15, v0, v1 offset1:8                    // 000000005458: D81E0800 0001000F
	s_or_b64 exec, exec, s[44:45]                              // 000000005460: 87FE2C7E
	s_waitcnt lgkmcnt(0)                                       // 000000005464: BF8CC07F
	s_barrier                                                  // 000000005468: BF8A0000
	s_and_saveexec_b64 s[44:45], s[4:5]                        // 00000000546C: BEAC2004
	s_cbranch_execz 31                                         // 000000005470: BF88001F <_ZN5aiter11PrefillTopKL10topKPerRowILi1024ELi2048ELi2048ELi512EEEvPvPKfPKiS6_PiPfii+0x38f0>
	ds_read2st64_b32 v[0:1], v5 offset1:8                      // 000000005474: D8700800 00000005
	ds_read2st64_b32 v[2:3], v8 offset0:32 offset1:40          // 00000000547C: D8702820 02000008
	v_or_b32_e32 v15, 0x2000, v8                               // 000000005484: 281E10FF 00002000
	s_waitcnt lgkmcnt(0)                                       // 00000000548C: BF8CC07F
	v_cmp_ngt_f32_e64 s[26:27], v1, v3                         // 000000005490: D04B001A 00020701
	s_mov_b64 s[28:29], -1                                     // 000000005498: BE9C01C1
	s_and_saveexec_b64 s[46:47], s[26:27]                      // 00000000549C: BEAE201A
	v_cmp_eq_f32_e64 s[26:27], v1, v3                          // 0000000054A0: D042001A 00020701
	v_cmp_gt_i32_e64 s[28:29], v0, v2                          // 0000000054A8: D0C4001C 00020500
	s_and_b64 s[26:27], s[26:27], s[28:29]                     // 0000000054B0: 869A1C1A
	s_orn2_b64 s[28:29], s[26:27], exec                        // 0000000054B4: 8A9C7E1A
	s_or_b64 exec, exec, s[46:47]                              // 0000000054B8: 87FE2E7E
	s_xor_b64 s[26:27], s[0:1], s[28:29]                       // 0000000054BC: 889A1C00
	v_cndmask_b32_e64 v16, v1, v3, s[26:27]                    // 0000000054C0: D1000010 006A0701
	v_cndmask_b32_e64 v1, v3, v1, s[26:27]                     // 0000000054C8: D1000001 006A0303
	v_cndmask_b32_e64 v3, v0, v2, s[26:27]                     // 0000000054D0: D1000003 006A0500
	ds_write2st64_b32 v5, v3, v16 offset1:8                    // 0000000054D8: D81E0800 00100305
	v_cndmask_b32_e64 v0, v2, v0, s[26:27]                     // 0000000054E0: D1000000 006A0102
	ds_write2st64_b32 v15, v0, v1 offset1:8                    // 0000000054E8: D81E0800 0001000F
	s_or_b64 exec, exec, s[44:45]                              // 0000000054F0: 87FE2C7E
	s_waitcnt lgkmcnt(0)                                       // 0000000054F4: BF8CC07F
	s_barrier                                                  // 0000000054F8: BF8A0000
	s_and_saveexec_b64 s[44:45], s[10:11]                      // 0000000054FC: BEAC200A
	s_cbranch_execz 31                                         // 000000005500: BF88001F <_ZN5aiter11PrefillTopKL10topKPerRowILi1024ELi2048ELi2048ELi512EEEvPvPKfPKiS6_PiPfii+0x3980>
	ds_read2st64_b32 v[0:1], v5 offset1:8                      // 000000005504: D8700800 00000005
	ds_read2st64_b32 v[2:3], v9 offset0:32 offset1:40          // 00000000550C: D8702820 02000009
	v_or_b32_e32 v15, 0x2000, v9                               // 000000005514: 281E12FF 00002000
	s_waitcnt lgkmcnt(0)                                       // 00000000551C: BF8CC07F
	v_cmp_ngt_f32_e64 s[26:27], v1, v3                         // 000000005520: D04B001A 00020701
	s_mov_b64 s[28:29], -1                                     // 000000005528: BE9C01C1
	s_and_saveexec_b64 s[46:47], s[26:27]                      // 00000000552C: BEAE201A
	v_cmp_eq_f32_e64 s[26:27], v1, v3                          // 000000005530: D042001A 00020701
	v_cmp_gt_i32_e64 s[28:29], v0, v2                          // 000000005538: D0C4001C 00020500
	s_and_b64 s[26:27], s[26:27], s[28:29]                     // 000000005540: 869A1C1A
	s_orn2_b64 s[28:29], s[26:27], exec                        // 000000005544: 8A9C7E1A
	s_or_b64 exec, exec, s[46:47]                              // 000000005548: 87FE2E7E
	s_xor_b64 s[26:27], s[0:1], s[28:29]                       // 00000000554C: 889A1C00
	v_cndmask_b32_e64 v16, v1, v3, s[26:27]                    // 000000005550: D1000010 006A0701
	v_cndmask_b32_e64 v1, v3, v1, s[26:27]                     // 000000005558: D1000001 006A0303
	v_cndmask_b32_e64 v3, v0, v2, s[26:27]                     // 000000005560: D1000003 006A0500
	ds_write2st64_b32 v5, v3, v16 offset1:8                    // 000000005568: D81E0800 00100305
	v_cndmask_b32_e64 v0, v2, v0, s[26:27]                     // 000000005570: D1000000 006A0102
	ds_write2st64_b32 v15, v0, v1 offset1:8                    // 000000005578: D81E0800 0001000F
	s_or_b64 exec, exec, s[44:45]                              // 000000005580: 87FE2C7E
	s_waitcnt lgkmcnt(0)                                       // 000000005584: BF8CC07F
	s_barrier                                                  // 000000005588: BF8A0000
	s_and_saveexec_b64 s[44:45], s[14:15]                      // 00000000558C: BEAC200E
	s_cbranch_execz 31                                         // 000000005590: BF88001F <_ZN5aiter11PrefillTopKL10topKPerRowILi1024ELi2048ELi2048ELi512EEEvPvPKfPKiS6_PiPfii+0x3a10>
	ds_read2st64_b32 v[0:1], v5 offset1:8                      // 000000005594: D8700800 00000005
	ds_read2st64_b32 v[2:3], v10 offset0:32 offset1:40         // 00000000559C: D8702820 0200000A
	v_or_b32_e32 v15, 0x2000, v10                              // 0000000055A4: 281E14FF 00002000
	s_waitcnt lgkmcnt(0)                                       // 0000000055AC: BF8CC07F
	v_cmp_ngt_f32_e64 s[26:27], v1, v3                         // 0000000055B0: D04B001A 00020701
	s_mov_b64 s[28:29], -1                                     // 0000000055B8: BE9C01C1
	s_and_saveexec_b64 s[46:47], s[26:27]                      // 0000000055BC: BEAE201A
	v_cmp_eq_f32_e64 s[26:27], v1, v3                          // 0000000055C0: D042001A 00020701
	v_cmp_gt_i32_e64 s[28:29], v0, v2                          // 0000000055C8: D0C4001C 00020500
	s_and_b64 s[26:27], s[26:27], s[28:29]                     // 0000000055D0: 869A1C1A
	s_orn2_b64 s[28:29], s[26:27], exec                        // 0000000055D4: 8A9C7E1A
	s_or_b64 exec, exec, s[46:47]                              // 0000000055D8: 87FE2E7E
	s_xor_b64 s[26:27], s[0:1], s[28:29]                       // 0000000055DC: 889A1C00
	v_cndmask_b32_e64 v16, v1, v3, s[26:27]                    // 0000000055E0: D1000010 006A0701
	v_cndmask_b32_e64 v1, v3, v1, s[26:27]                     // 0000000055E8: D1000001 006A0303
	v_cndmask_b32_e64 v3, v0, v2, s[26:27]                     // 0000000055F0: D1000003 006A0500
	ds_write2st64_b32 v5, v3, v16 offset1:8                    // 0000000055F8: D81E0800 00100305
	v_cndmask_b32_e64 v0, v2, v0, s[26:27]                     // 000000005600: D1000000 006A0102
	ds_write2st64_b32 v15, v0, v1 offset1:8                    // 000000005608: D81E0800 0001000F
	s_or_b64 exec, exec, s[44:45]                              // 000000005610: 87FE2C7E
	s_waitcnt lgkmcnt(0)                                       // 000000005614: BF8CC07F
	s_barrier                                                  // 000000005618: BF8A0000
	s_and_saveexec_b64 s[44:45], s[16:17]                      // 00000000561C: BEAC2010
	s_cbranch_execz 31                                         // 000000005620: BF88001F <_ZN5aiter11PrefillTopKL10topKPerRowILi1024ELi2048ELi2048ELi512EEEvPvPKfPKiS6_PiPfii+0x3aa0>
	ds_read2st64_b32 v[0:1], v5 offset1:8                      // 000000005624: D8700800 00000005
	ds_read2st64_b32 v[2:3], v11 offset0:32 offset1:40         // 00000000562C: D8702820 0200000B
	v_or_b32_e32 v15, 0x2000, v11                              // 000000005634: 281E16FF 00002000
	s_waitcnt lgkmcnt(0)                                       // 00000000563C: BF8CC07F
	v_cmp_ngt_f32_e64 s[26:27], v1, v3                         // 000000005640: D04B001A 00020701
	s_mov_b64 s[28:29], -1                                     // 000000005648: BE9C01C1
	s_and_saveexec_b64 s[46:47], s[26:27]                      // 00000000564C: BEAE201A
	v_cmp_eq_f32_e64 s[26:27], v1, v3                          // 000000005650: D042001A 00020701
	v_cmp_gt_i32_e64 s[28:29], v0, v2                          // 000000005658: D0C4001C 00020500
	s_and_b64 s[26:27], s[26:27], s[28:29]                     // 000000005660: 869A1C1A
	s_orn2_b64 s[28:29], s[26:27], exec                        // 000000005664: 8A9C7E1A
	s_or_b64 exec, exec, s[46:47]                              // 000000005668: 87FE2E7E
	s_xor_b64 s[26:27], s[0:1], s[28:29]                       // 00000000566C: 889A1C00
	v_cndmask_b32_e64 v16, v1, v3, s[26:27]                    // 000000005670: D1000010 006A0701
	v_cndmask_b32_e64 v1, v3, v1, s[26:27]                     // 000000005678: D1000001 006A0303
	v_cndmask_b32_e64 v3, v0, v2, s[26:27]                     // 000000005680: D1000003 006A0500
	ds_write2st64_b32 v5, v3, v16 offset1:8                    // 000000005688: D81E0800 00100305
	v_cndmask_b32_e64 v0, v2, v0, s[26:27]                     // 000000005690: D1000000 006A0102
	ds_write2st64_b32 v15, v0, v1 offset1:8                    // 000000005698: D81E0800 0001000F
	s_or_b64 exec, exec, s[44:45]                              // 0000000056A0: 87FE2C7E
	s_waitcnt lgkmcnt(0)                                       // 0000000056A4: BF8CC07F
	s_barrier                                                  // 0000000056A8: BF8A0000
	s_and_saveexec_b64 s[44:45], s[18:19]                      // 0000000056AC: BEAC2012
	s_cbranch_execz 31                                         // 0000000056B0: BF88001F <_ZN5aiter11PrefillTopKL10topKPerRowILi1024ELi2048ELi2048ELi512EEEvPvPKfPKiS6_PiPfii+0x3b30>
	ds_read2st64_b32 v[0:1], v5 offset1:8                      // 0000000056B4: D8700800 00000005
	ds_read2st64_b32 v[2:3], v12 offset0:32 offset1:40         // 0000000056BC: D8702820 0200000C
	v_or_b32_e32 v15, 0x2000, v12                              // 0000000056C4: 281E18FF 00002000
	s_waitcnt lgkmcnt(0)                                       // 0000000056CC: BF8CC07F
	v_cmp_ngt_f32_e64 s[26:27], v1, v3                         // 0000000056D0: D04B001A 00020701
	s_mov_b64 s[28:29], -1                                     // 0000000056D8: BE9C01C1
	s_and_saveexec_b64 s[46:47], s[26:27]                      // 0000000056DC: BEAE201A
	v_cmp_eq_f32_e64 s[26:27], v1, v3                          // 0000000056E0: D042001A 00020701
	v_cmp_gt_i32_e64 s[28:29], v0, v2                          // 0000000056E8: D0C4001C 00020500
	s_and_b64 s[26:27], s[26:27], s[28:29]                     // 0000000056F0: 869A1C1A
	s_orn2_b64 s[28:29], s[26:27], exec                        // 0000000056F4: 8A9C7E1A
	s_or_b64 exec, exec, s[46:47]                              // 0000000056F8: 87FE2E7E
	s_xor_b64 s[26:27], s[0:1], s[28:29]                       // 0000000056FC: 889A1C00
	v_cndmask_b32_e64 v16, v1, v3, s[26:27]                    // 000000005700: D1000010 006A0701
	v_cndmask_b32_e64 v1, v3, v1, s[26:27]                     // 000000005708: D1000001 006A0303
	v_cndmask_b32_e64 v3, v0, v2, s[26:27]                     // 000000005710: D1000003 006A0500
	ds_write2st64_b32 v5, v3, v16 offset1:8                    // 000000005718: D81E0800 00100305
	v_cndmask_b32_e64 v0, v2, v0, s[26:27]                     // 000000005720: D1000000 006A0102
	ds_write2st64_b32 v15, v0, v1 offset1:8                    // 000000005728: D81E0800 0001000F
	s_or_b64 exec, exec, s[44:45]                              // 000000005730: 87FE2C7E
	s_waitcnt lgkmcnt(0)                                       // 000000005734: BF8CC07F
	s_barrier                                                  // 000000005738: BF8A0000
	s_and_saveexec_b64 s[44:45], s[20:21]                      // 00000000573C: BEAC2014
	s_cbranch_execz 31                                         // 000000005740: BF88001F <_ZN5aiter11PrefillTopKL10topKPerRowILi1024ELi2048ELi2048ELi512EEEvPvPKfPKiS6_PiPfii+0x3bc0>
	ds_read2st64_b32 v[0:1], v5 offset1:8                      // 000000005744: D8700800 00000005
	ds_read2st64_b32 v[2:3], v13 offset0:32 offset1:40         // 00000000574C: D8702820 0200000D
	v_or_b32_e32 v15, 0x2000, v13                              // 000000005754: 281E1AFF 00002000
	s_waitcnt lgkmcnt(0)                                       // 00000000575C: BF8CC07F
	v_cmp_ngt_f32_e64 s[26:27], v1, v3                         // 000000005760: D04B001A 00020701
	s_mov_b64 s[28:29], -1                                     // 000000005768: BE9C01C1
	s_and_saveexec_b64 s[46:47], s[26:27]                      // 00000000576C: BEAE201A
	v_cmp_eq_f32_e64 s[26:27], v1, v3                          // 000000005770: D042001A 00020701
	v_cmp_gt_i32_e64 s[28:29], v0, v2                          // 000000005778: D0C4001C 00020500
	s_and_b64 s[26:27], s[26:27], s[28:29]                     // 000000005780: 869A1C1A
	s_orn2_b64 s[28:29], s[26:27], exec                        // 000000005784: 8A9C7E1A
	s_or_b64 exec, exec, s[46:47]                              // 000000005788: 87FE2E7E
	s_xor_b64 s[0:1], s[0:1], s[28:29]                         // 00000000578C: 88801C00
	v_cndmask_b32_e64 v16, v1, v3, s[0:1]                      // 000000005790: D1000010 00020701
	v_cndmask_b32_e64 v1, v3, v1, s[0:1]                       // 000000005798: D1000001 00020303
	v_cndmask_b32_e64 v3, v0, v2, s[0:1]                       // 0000000057A0: D1000003 00020500
	ds_write2st64_b32 v5, v3, v16 offset1:8                    // 0000000057A8: D81E0800 00100305
	v_cndmask_b32_e64 v0, v2, v0, s[0:1]                       // 0000000057B0: D1000000 00020102
	ds_write2st64_b32 v15, v0, v1 offset1:8                    // 0000000057B8: D81E0800 0001000F
	s_or_b64 exec, exec, s[44:45]                              // 0000000057C0: 87FE2C7E
	s_waitcnt lgkmcnt(0)                                       // 0000000057C4: BF8CC07F
	s_barrier                                                  // 0000000057C8: BF8A0000
	v_xor_b32_e32 v2, 0x100, v6                                // 0000000057CC: 2A040CFF 00000100
	v_cmp_gt_u32_e64 s[0:1], v2, v6                            // 0000000057D4: D0CC0000 00020D02
	s_and_saveexec_b64 s[28:29], s[0:1]                        // 0000000057DC: BE9C2000
	s_cbranch_execz 31                                         // 0000000057E0: BF88001F <_ZN5aiter11PrefillTopKL10topKPerRowILi1024ELi2048ELi2048ELi512EEEvPvPKfPKiS6_PiPfii+0x3c60>
	ds_read2st64_b32 v[0:1], v5 offset1:8                      // 0000000057E4: D8700800 00000005
	v_lshlrev_b32_e32 v15, 2, v2                               // 0000000057EC: 241E0482
	ds_read2st64_b32 v[2:3], v15 offset0:32 offset1:40         // 0000000057F0: D8702820 0200000F
	v_or_b32_e32 v15, 0x2000, v15                              // 0000000057F8: 281E1EFF 00002000
	s_waitcnt lgkmcnt(0)                                       // 000000005800: BF8CC07F
	v_cmp_ngt_f32_e64 s[0:1], v1, v3                           // 000000005804: D04B0000 00020701
	s_mov_b64 s[26:27], -1                                     // 00000000580C: BE9A01C1
	s_and_saveexec_b64 s[44:45], s[0:1]                        // 000000005810: BEAC2000
	v_cmp_eq_f32_e64 s[0:1], v1, v3                            // 000000005814: D0420000 00020701
	v_cmp_gt_i32_e64 s[26:27], v0, v2                          // 00000000581C: D0C4001A 00020500
	s_and_b64 s[0:1], s[0:1], s[26:27]                         // 000000005824: 86801A00
	s_orn2_b64 s[26:27], s[0:1], exec                          // 000000005828: 8A9A7E00
	s_or_b64 exec, exec, s[44:45]                              // 00000000582C: 87FE2C7E
	v_cndmask_b32_e64 v16, v3, v1, s[26:27]                    // 000000005830: D1000010 006A0303
	v_cndmask_b32_e64 v1, v1, v3, s[26:27]                     // 000000005838: D1000001 006A0701
	v_cndmask_b32_e64 v3, v2, v0, s[26:27]                     // 000000005840: D1000003 006A0102
	ds_write2st64_b32 v5, v3, v16 offset1:8                    // 000000005848: D81E0800 00100305
	v_cndmask_b32_e64 v0, v0, v2, s[26:27]                     // 000000005850: D1000000 006A0500
	ds_write2st64_b32 v15, v0, v1 offset1:8                    // 000000005858: D81E0800 0001000F
	s_or_b64 exec, exec, s[28:29]                              // 000000005860: 87FE1C7E
	s_waitcnt lgkmcnt(0)                                       // 000000005864: BF8CC07F
	s_barrier                                                  // 000000005868: BF8A0000
	s_and_saveexec_b64 s[26:27], s[22:23]                      // 00000000586C: BE9A2016
	s_cbranch_execz 30                                         // 000000005870: BF88001E <_ZN5aiter11PrefillTopKL10topKPerRowILi1024ELi2048ELi2048ELi512EEEvPvPKfPKiS6_PiPfii+0x3cec>
	ds_read2st64_b32 v[0:1], v5 offset1:8                      // 000000005874: D8700800 00000005
	ds_read2st64_b32 v[2:3], v14 offset0:32 offset1:40         // 00000000587C: D8702820 0200000E
	v_or_b32_e32 v14, 0x2000, v14                              // 000000005884: 281C1CFF 00002000
	s_waitcnt lgkmcnt(0)                                       // 00000000588C: BF8CC07F
	v_cmp_ngt_f32_e64 s[0:1], v1, v3                           // 000000005890: D04B0000 00020701
	s_mov_b64 s[22:23], -1                                     // 000000005898: BE9601C1
	s_and_saveexec_b64 s[28:29], s[0:1]                        // 00000000589C: BE9C2000
	v_cmp_eq_f32_e64 s[0:1], v1, v3                            // 0000000058A0: D0420000 00020701
	v_cmp_gt_i32_e64 s[22:23], v0, v2                          // 0000000058A8: D0C40016 00020500
	s_and_b64 s[0:1], s[0:1], s[22:23]                         // 0000000058B0: 86801600
	s_orn2_b64 s[22:23], s[0:1], exec                          // 0000000058B4: 8A967E00
	s_or_b64 exec, exec, s[28:29]                              // 0000000058B8: 87FE1C7E
	v_cndmask_b32_e64 v15, v3, v1, s[22:23]                    // 0000000058BC: D100000F 005A0303
	v_cndmask_b32_e64 v1, v1, v3, s[22:23]                     // 0000000058C4: D1000001 005A0701
	v_cndmask_b32_e64 v3, v2, v0, s[22:23]                     // 0000000058CC: D1000003 005A0102
	ds_write2st64_b32 v5, v3, v15 offset1:8                    // 0000000058D4: D81E0800 000F0305
	v_cndmask_b32_e64 v0, v0, v2, s[22:23]                     // 0000000058DC: D1000000 005A0500
	ds_write2st64_b32 v14, v0, v1 offset1:8                    // 0000000058E4: D81E0800 0001000E
	s_or_b64 exec, exec, s[26:27]                              // 0000000058EC: 87FE1A7E
	s_waitcnt lgkmcnt(0)                                       // 0000000058F0: BF8CC07F
	s_barrier                                                  // 0000000058F4: BF8A0000
	s_and_saveexec_b64 s[22:23], vcc                           // 0000000058F8: BE96206A
	s_cbranch_execz 28                                         // 0000000058FC: BF88001C <_ZN5aiter11PrefillTopKL10topKPerRowILi1024ELi2048ELi2048ELi512EEEvPvPKfPKiS6_PiPfii+0x3d70>
	ds_read2st64_b32 v[0:1], v5 offset1:8                      // 000000005900: D8700800 00000005
	ds_read2st64_b32 v[2:3], v7 offset0:32 offset1:40          // 000000005908: D8702820 02000007
	v_or_b32_e32 v7, 0x2000, v7                                // 000000005910: 280E0EFF 00002000
	s_waitcnt lgkmcnt(0)                                       // 000000005918: BF8CC07F
	v_cmp_ngt_f32_e32 vcc, v1, v3                              // 00000000591C: 7C960701
	s_mov_b64 s[0:1], 0                                        // 000000005920: BE800180
	s_and_saveexec_b64 s[26:27], vcc                           // 000000005924: BE9A206A
	v_cmp_neq_f32_e32 vcc, v1, v3                              // 000000005928: 7C9A0701
	v_cmp_le_i32_e64 s[0:1], v0, v2                            // 00000000592C: D0C30000 00020500
	s_or_b64 s[0:1], vcc, s[0:1]                               // 000000005934: 8780006A
	s_and_b64 s[0:1], s[0:1], exec                             // 000000005938: 86807E00
	s_or_b64 exec, exec, s[26:27]                              // 00000000593C: 87FE1A7E
	v_cndmask_b32_e64 v14, v1, v3, s[0:1]                      // 000000005940: D100000E 00020701
	v_cndmask_b32_e64 v1, v3, v1, s[0:1]                       // 000000005948: D1000001 00020303
	v_cndmask_b32_e64 v3, v0, v2, s[0:1]                       // 000000005950: D1000003 00020500
	ds_write2st64_b32 v5, v3, v14 offset1:8                    // 000000005958: D81E0800 000E0305
	v_cndmask_b32_e64 v0, v2, v0, s[0:1]                       // 000000005960: D1000000 00020102
	ds_write2st64_b32 v7, v0, v1 offset1:8                     // 000000005968: D81E0800 00010007
	s_or_b64 exec, exec, s[22:23]                              // 000000005970: 87FE167E
	s_waitcnt lgkmcnt(0)                                       // 000000005974: BF8CC07F
	s_barrier                                                  // 000000005978: BF8A0000
	s_and_saveexec_b64 s[22:23], s[4:5]                        // 00000000597C: BE962004
	s_cbranch_execz 28                                         // 000000005980: BF88001C <_ZN5aiter11PrefillTopKL10topKPerRowILi1024ELi2048ELi2048ELi512EEEvPvPKfPKiS6_PiPfii+0x3df4>
	ds_read2st64_b32 v[0:1], v5 offset1:8                      // 000000005984: D8700800 00000005
	ds_read2st64_b32 v[2:3], v8 offset0:32 offset1:40          // 00000000598C: D8702820 02000008
	v_or_b32_e32 v7, 0x2000, v8                                // 000000005994: 280E10FF 00002000
	s_waitcnt lgkmcnt(0)                                       // 00000000599C: BF8CC07F
	v_cmp_ngt_f32_e32 vcc, v1, v3                              // 0000000059A0: 7C960701
	s_mov_b64 s[0:1], 0                                        // 0000000059A4: BE800180
	s_and_saveexec_b64 s[4:5], vcc                             // 0000000059A8: BE84206A
	v_cmp_neq_f32_e32 vcc, v1, v3                              // 0000000059AC: 7C9A0701
	v_cmp_le_i32_e64 s[0:1], v0, v2                            // 0000000059B0: D0C30000 00020500
	s_or_b64 s[0:1], vcc, s[0:1]                               // 0000000059B8: 8780006A
	s_and_b64 s[0:1], s[0:1], exec                             // 0000000059BC: 86807E00
	s_or_b64 exec, exec, s[4:5]                                // 0000000059C0: 87FE047E
	v_cndmask_b32_e64 v8, v1, v3, s[0:1]                       // 0000000059C4: D1000008 00020701
	v_cndmask_b32_e64 v1, v3, v1, s[0:1]                       // 0000000059CC: D1000001 00020303
	v_cndmask_b32_e64 v3, v0, v2, s[0:1]                       // 0000000059D4: D1000003 00020500
	ds_write2st64_b32 v5, v3, v8 offset1:8                     // 0000000059DC: D81E0800 00080305
	v_cndmask_b32_e64 v0, v2, v0, s[0:1]                       // 0000000059E4: D1000000 00020102
	ds_write2st64_b32 v7, v0, v1 offset1:8                     // 0000000059EC: D81E0800 00010007
	s_or_b64 exec, exec, s[22:23]                              // 0000000059F4: 87FE167E
	s_waitcnt lgkmcnt(0)                                       // 0000000059F8: BF8CC07F
	s_barrier                                                  // 0000000059FC: BF8A0000
	s_and_saveexec_b64 s[4:5], s[10:11]                        // 000000005A00: BE84200A
	s_cbranch_execz 28                                         // 000000005A04: BF88001C <_ZN5aiter11PrefillTopKL10topKPerRowILi1024ELi2048ELi2048ELi512EEEvPvPKfPKiS6_PiPfii+0x3e78>
	ds_read2st64_b32 v[0:1], v5 offset1:8                      // 000000005A08: D8700800 00000005
	ds_read2st64_b32 v[2:3], v9 offset0:32 offset1:40          // 000000005A10: D8702820 02000009
	v_or_b32_e32 v7, 0x2000, v9                                // 000000005A18: 280E12FF 00002000
	s_waitcnt lgkmcnt(0)                                       // 000000005A20: BF8CC07F
	v_cmp_ngt_f32_e32 vcc, v1, v3                              // 000000005A24: 7C960701
	s_mov_b64 s[0:1], 0                                        // 000000005A28: BE800180
	s_and_saveexec_b64 s[10:11], vcc                           // 000000005A2C: BE8A206A
	v_cmp_neq_f32_e32 vcc, v1, v3                              // 000000005A30: 7C9A0701
	v_cmp_le_i32_e64 s[0:1], v0, v2                            // 000000005A34: D0C30000 00020500
	s_or_b64 s[0:1], vcc, s[0:1]                               // 000000005A3C: 8780006A
	s_and_b64 s[0:1], s[0:1], exec                             // 000000005A40: 86807E00
	s_or_b64 exec, exec, s[10:11]                              // 000000005A44: 87FE0A7E
	v_cndmask_b32_e64 v8, v1, v3, s[0:1]                       // 000000005A48: D1000008 00020701
	v_cndmask_b32_e64 v1, v3, v1, s[0:1]                       // 000000005A50: D1000001 00020303
	v_cndmask_b32_e64 v3, v0, v2, s[0:1]                       // 000000005A58: D1000003 00020500
	ds_write2st64_b32 v5, v3, v8 offset1:8                     // 000000005A60: D81E0800 00080305
	v_cndmask_b32_e64 v0, v2, v0, s[0:1]                       // 000000005A68: D1000000 00020102
	ds_write2st64_b32 v7, v0, v1 offset1:8                     // 000000005A70: D81E0800 00010007
	s_or_b64 exec, exec, s[4:5]                                // 000000005A78: 87FE047E
	s_waitcnt lgkmcnt(0)                                       // 000000005A7C: BF8CC07F
	s_barrier                                                  // 000000005A80: BF8A0000
	s_and_saveexec_b64 s[4:5], s[14:15]                        // 000000005A84: BE84200E
	s_cbranch_execz 28                                         // 000000005A88: BF88001C <_ZN5aiter11PrefillTopKL10topKPerRowILi1024ELi2048ELi2048ELi512EEEvPvPKfPKiS6_PiPfii+0x3efc>
	ds_read2st64_b32 v[0:1], v5 offset1:8                      // 000000005A8C: D8700800 00000005
	ds_read2st64_b32 v[2:3], v10 offset0:32 offset1:40         // 000000005A94: D8702820 0200000A
	v_or_b32_e32 v7, 0x2000, v10                               // 000000005A9C: 280E14FF 00002000
	s_waitcnt lgkmcnt(0)                                       // 000000005AA4: BF8CC07F
	v_cmp_ngt_f32_e32 vcc, v1, v3                              // 000000005AA8: 7C960701
	s_mov_b64 s[0:1], 0                                        // 000000005AAC: BE800180
	s_and_saveexec_b64 s[10:11], vcc                           // 000000005AB0: BE8A206A
	v_cmp_neq_f32_e32 vcc, v1, v3                              // 000000005AB4: 7C9A0701
	v_cmp_le_i32_e64 s[0:1], v0, v2                            // 000000005AB8: D0C30000 00020500
	s_or_b64 s[0:1], vcc, s[0:1]                               // 000000005AC0: 8780006A
	s_and_b64 s[0:1], s[0:1], exec                             // 000000005AC4: 86807E00
	s_or_b64 exec, exec, s[10:11]                              // 000000005AC8: 87FE0A7E
	v_cndmask_b32_e64 v8, v1, v3, s[0:1]                       // 000000005ACC: D1000008 00020701
	v_cndmask_b32_e64 v1, v3, v1, s[0:1]                       // 000000005AD4: D1000001 00020303
	v_cndmask_b32_e64 v3, v0, v2, s[0:1]                       // 000000005ADC: D1000003 00020500
	ds_write2st64_b32 v5, v3, v8 offset1:8                     // 000000005AE4: D81E0800 00080305
	v_cndmask_b32_e64 v0, v2, v0, s[0:1]                       // 000000005AEC: D1000000 00020102
	ds_write2st64_b32 v7, v0, v1 offset1:8                     // 000000005AF4: D81E0800 00010007
	s_or_b64 exec, exec, s[4:5]                                // 000000005AFC: 87FE047E
	s_waitcnt lgkmcnt(0)                                       // 000000005B00: BF8CC07F
	s_barrier                                                  // 000000005B04: BF8A0000
	s_and_saveexec_b64 s[4:5], s[16:17]                        // 000000005B08: BE842010
	s_cbranch_execz 28                                         // 000000005B0C: BF88001C <_ZN5aiter11PrefillTopKL10topKPerRowILi1024ELi2048ELi2048ELi512EEEvPvPKfPKiS6_PiPfii+0x3f80>
	ds_read2st64_b32 v[0:1], v5 offset1:8                      // 000000005B10: D8700800 00000005
	ds_read2st64_b32 v[2:3], v11 offset0:32 offset1:40         // 000000005B18: D8702820 0200000B
	v_or_b32_e32 v7, 0x2000, v11                               // 000000005B20: 280E16FF 00002000
	s_waitcnt lgkmcnt(0)                                       // 000000005B28: BF8CC07F
	v_cmp_ngt_f32_e32 vcc, v1, v3                              // 000000005B2C: 7C960701
	s_mov_b64 s[0:1], 0                                        // 000000005B30: BE800180
	s_and_saveexec_b64 s[10:11], vcc                           // 000000005B34: BE8A206A
	v_cmp_neq_f32_e32 vcc, v1, v3                              // 000000005B38: 7C9A0701
	v_cmp_le_i32_e64 s[0:1], v0, v2                            // 000000005B3C: D0C30000 00020500
	s_or_b64 s[0:1], vcc, s[0:1]                               // 000000005B44: 8780006A
	s_and_b64 s[0:1], s[0:1], exec                             // 000000005B48: 86807E00
	s_or_b64 exec, exec, s[10:11]                              // 000000005B4C: 87FE0A7E
	v_cndmask_b32_e64 v8, v1, v3, s[0:1]                       // 000000005B50: D1000008 00020701
	v_cndmask_b32_e64 v1, v3, v1, s[0:1]                       // 000000005B58: D1000001 00020303
	v_cndmask_b32_e64 v3, v0, v2, s[0:1]                       // 000000005B60: D1000003 00020500
	ds_write2st64_b32 v5, v3, v8 offset1:8                     // 000000005B68: D81E0800 00080305
	v_cndmask_b32_e64 v0, v2, v0, s[0:1]                       // 000000005B70: D1000000 00020102
	ds_write2st64_b32 v7, v0, v1 offset1:8                     // 000000005B78: D81E0800 00010007
	s_or_b64 exec, exec, s[4:5]                                // 000000005B80: 87FE047E
	s_waitcnt lgkmcnt(0)                                       // 000000005B84: BF8CC07F
	s_barrier                                                  // 000000005B88: BF8A0000
	s_and_saveexec_b64 s[4:5], s[18:19]                        // 000000005B8C: BE842012
	s_cbranch_execz 28                                         // 000000005B90: BF88001C <_ZN5aiter11PrefillTopKL10topKPerRowILi1024ELi2048ELi2048ELi512EEEvPvPKfPKiS6_PiPfii+0x4004>
	ds_read2st64_b32 v[0:1], v5 offset1:8                      // 000000005B94: D8700800 00000005
	ds_read2st64_b32 v[2:3], v12 offset0:32 offset1:40         // 000000005B9C: D8702820 0200000C
	v_or_b32_e32 v7, 0x2000, v12                               // 000000005BA4: 280E18FF 00002000
	s_waitcnt lgkmcnt(0)                                       // 000000005BAC: BF8CC07F
	v_cmp_ngt_f32_e32 vcc, v1, v3                              // 000000005BB0: 7C960701
	s_mov_b64 s[0:1], 0                                        // 000000005BB4: BE800180
	s_and_saveexec_b64 s[10:11], vcc                           // 000000005BB8: BE8A206A
	v_cmp_neq_f32_e32 vcc, v1, v3                              // 000000005BBC: 7C9A0701
	v_cmp_le_i32_e64 s[0:1], v0, v2                            // 000000005BC0: D0C30000 00020500
	s_or_b64 s[0:1], vcc, s[0:1]                               // 000000005BC8: 8780006A
	s_and_b64 s[0:1], s[0:1], exec                             // 000000005BCC: 86807E00
	s_or_b64 exec, exec, s[10:11]                              // 000000005BD0: 87FE0A7E
	v_cndmask_b32_e64 v8, v1, v3, s[0:1]                       // 000000005BD4: D1000008 00020701
	v_cndmask_b32_e64 v1, v3, v1, s[0:1]                       // 000000005BDC: D1000001 00020303
	v_cndmask_b32_e64 v3, v0, v2, s[0:1]                       // 000000005BE4: D1000003 00020500
	ds_write2st64_b32 v5, v3, v8 offset1:8                     // 000000005BEC: D81E0800 00080305
	v_cndmask_b32_e64 v0, v2, v0, s[0:1]                       // 000000005BF4: D1000000 00020102
	ds_write2st64_b32 v7, v0, v1 offset1:8                     // 000000005BFC: D81E0800 00010007
	s_or_b64 exec, exec, s[4:5]                                // 000000005C04: 87FE047E
	s_waitcnt lgkmcnt(0)                                       // 000000005C08: BF8CC07F
	s_barrier                                                  // 000000005C0C: BF8A0000
	s_and_saveexec_b64 s[4:5], s[20:21]                        // 000000005C10: BE842014
	s_cbranch_execz 28                                         // 000000005C14: BF88001C <_ZN5aiter11PrefillTopKL10topKPerRowILi1024ELi2048ELi2048ELi512EEEvPvPKfPKiS6_PiPfii+0x4088>
	ds_read2st64_b32 v[0:1], v5 offset1:8                      // 000000005C18: D8700800 00000005
	ds_read2st64_b32 v[2:3], v13 offset0:32 offset1:40         // 000000005C20: D8702820 0200000D
	v_or_b32_e32 v7, 0x2000, v13                               // 000000005C28: 280E1AFF 00002000
	s_waitcnt lgkmcnt(0)                                       // 000000005C30: BF8CC07F
	v_cmp_ngt_f32_e32 vcc, v1, v3                              // 000000005C34: 7C960701
	s_mov_b64 s[0:1], 0                                        // 000000005C38: BE800180
	s_and_saveexec_b64 s[10:11], vcc                           // 000000005C3C: BE8A206A
	v_cmp_neq_f32_e32 vcc, v1, v3                              // 000000005C40: 7C9A0701
	v_cmp_le_i32_e64 s[0:1], v0, v2                            // 000000005C44: D0C30000 00020500
	s_or_b64 s[0:1], vcc, s[0:1]                               // 000000005C4C: 8780006A
	s_and_b64 s[0:1], s[0:1], exec                             // 000000005C50: 86807E00
	s_or_b64 exec, exec, s[10:11]                              // 000000005C54: 87FE0A7E
	v_cndmask_b32_e64 v8, v1, v3, s[0:1]                       // 000000005C58: D1000008 00020701
	v_cndmask_b32_e64 v1, v3, v1, s[0:1]                       // 000000005C60: D1000001 00020303
	v_cndmask_b32_e64 v3, v0, v2, s[0:1]                       // 000000005C68: D1000003 00020500
	ds_write2st64_b32 v5, v3, v8 offset1:8                     // 000000005C70: D81E0800 00080305
	v_cndmask_b32_e64 v0, v2, v0, s[0:1]                       // 000000005C78: D1000000 00020102
	ds_write2st64_b32 v7, v0, v1 offset1:8                     // 000000005C80: D81E0800 00010007
	s_or_b64 exec, exec, s[4:5]                                // 000000005C88: 87FE047E
	s_mov_b64 s[26:27], exec                                   // 000000005C8C: BE9A017E
	s_waitcnt lgkmcnt(0)                                       // 000000005C90: BF8CC07F
	s_barrier                                                  // 000000005C94: BF8A0000
	s_or_b64 exec, exec, s[42:43]                              // 000000005C98: 87FE2A7E
	s_branch 60                                                // 000000005C9C: BF82003C <_ZN5aiter11PrefillTopKL10topKPerRowILi1024ELi2048ELi2048ELi512EEEvPvPKfPKiS6_PiPfii+0x4190>
	s_andn2_b64 vcc, exec, s[0:1]                              // 000000005CA0: 89EA007E
	s_cbranch_vccnz 2138                                       // 000000005CA4: BF87085A <_ZN5aiter11PrefillTopKL10topKPerRowILi1024ELi2048ELi2048ELi512EEEvPvPKfPKiS6_PiPfii+0x6210>
	v_cmp_gt_i32_e32 vcc, s57, v6                              // 000000005CA8: 7D880C39
	s_and_saveexec_b64 s[18:19], vcc                           // 000000005CAC: BE92206A
	s_cbranch_execz 2199                                       // 000000005CB0: BF880897 <_ZN5aiter11PrefillTopKL10topKPerRowILi1024ELi2048ELi2048ELi512EEEvPvPKfPKiS6_PiPfii+0x6310>
	ds_read2st64_b32 v[0:1], v18 offset0:32 offset1:40         // 000000005CB4: D8702820 00000012
	s_mov_b32 s20, 0                                           // 000000005CBC: BE940080
	s_mov_b32 s21, 1                                           // 000000005CC0: BE950081
	s_cmp_gt_u32 s57, 1                                        // 000000005CC4: BF088139
	v_mov_b32_e32 v2, 0                                        // 000000005CC8: 7E040280
	s_cbranch_scc0 2132                                        // 000000005CCC: BF840854 <_ZN5aiter11PrefillTopKL10topKPerRowILi1024ELi2048ELi2048ELi512EEEvPvPKfPKiS6_PiPfii+0x6220>
	s_and_b32 s20, s57, -2                                     // 000000005CD0: 8614C239
	s_waitcnt lgkmcnt(0)                                       // 000000005CD4: BF8CC07F
	v_mov_b32_e32 v2, v1                                       // 000000005CD8: 7E040301
	v_mov_b32_e32 v3, v1                                       // 000000005CDC: 7E060301
	v_mov_b32_e32 v5, v6                                       // 000000005CE0: 7E0A0306
	s_mov_b32 s22, 0                                           // 000000005CE4: BE960080
	v_mov_b32_e32 v7, 0                                        // 000000005CE8: 7E0E0280
	v_mov_b32_e32 v8, 0                                        // 000000005CEC: 7E100280
	s_mov_b32 s23, 0                                           // 000000005CF0: BE970080
	s_lshl_b32 s4, s22, 2                                      // 000000005CF4: 8E048216
	v_cmp_lt_u32_e32 vcc, s21, v5                              // 000000005CF8: 7D920A15
	v_cmp_lt_u32_e64 s[0:1], s23, v6                           // 000000005CFC: D0C90000 00020C17
	s_add_i32 s22, s22, 2                                      // 000000005D04: 81168216
	s_add_i32 s23, s23, 2                                      // 000000005D08: 81178217
	s_add_i32 s21, s21, 2                                      // 000000005D0C: 81158215
	v_mov_b32_e32 v9, s4                                       // 000000005D10: 7E120204
	ds_read_b64 v[10:11], v9 offset:10240                      // 000000005D14: D8EC2800 0A000009
	s_waitcnt lgkmcnt(0)                                       // 000000005D1C: BF8CC07F
	v_cmp_gt_f32_e64 s[4:5], v10, v2                           // 000000005D20: D0440004 0002050A
	v_cmp_gt_f32_e64 s[10:11], v11, v3                         // 000000005D28: D044000A 0002070B
	v_cmp_eq_f32_e64 s[14:15], v11, v3                         // 000000005D30: D042000E 0002070B
	v_cmp_eq_f32_e64 s[16:17], v10, v2                         // 000000005D38: D0420010 0002050A
	s_and_b64 s[0:1], s[0:1], s[16:17]                         // 000000005D40: 86801000
	s_and_b64 s[14:15], vcc, s[14:15]                          // 000000005D44: 868E0E6A
	s_or_b64 s[0:1], s[4:5], s[0:1]                            // 000000005D48: 87800004
	v_cndmask_b32_e64 v9, 0, 1, s[0:1]                         // 000000005D4C: D1000009 00010280
	s_or_b64 s[0:1], s[10:11], s[14:15]                        // 000000005D54: 87800E0A
	v_cndmask_b32_e64 v10, 0, 1, s[0:1]                        // 000000005D58: D100000A 00010280
	v_add_u32_e32 v8, v8, v10                                  // 000000005D60: 68101508
	s_cmp_lg_u32 s22, s20                                      // 000000005D64: BF071416
	v_add_u32_e32 v7, v7, v9                                   // 000000005D68: 680E1307
	s_cbranch_scc1 65505                                       // 000000005D6C: BF85FFE1 <_ZN5aiter11PrefillTopKL10topKPerRowILi1024ELi2048ELi2048ELi512EEEvPvPKfPKiS6_PiPfii+0x40f4>
	v_add_u32_e32 v2, v7, v8                                   // 000000005D70: 68041107
	s_cmp_lg_u32 s57, s20                                      // 000000005D74: BF071439
	s_cselect_b64 s[0:1], -1, 0                                // 000000005D78: 858080C1
	s_branch 2089                                              // 000000005D7C: BF820829 <_ZN5aiter11PrefillTopKL10topKPerRowILi1024ELi2048ELi2048ELi512EEEvPvPKfPKiS6_PiPfii+0x6224>
	s_mov_b64 s[26:27], 0                                      // 000000005D80: BE9A0180
	s_branch 1205                                              // 000000005D84: BF8204B5 <_ZN5aiter11PrefillTopKL10topKPerRowILi1024ELi2048ELi2048ELi512EEEvPvPKfPKiS6_PiPfii+0x545c>
	s_mov_b64 s[30:31], -1                                     // 000000005D88: BE9E01C1
	s_mov_b64 s[26:27], 0                                      // 000000005D8C: BE9A0180
	s_and_b64 vcc, exec, s[30:31]                              // 000000005D90: 86EA1E7E
	s_cbranch_vccz 1200                                        // 000000005D94: BF8604B0 <_ZN5aiter11PrefillTopKL10topKPerRowILi1024ELi2048ELi2048ELi512EEEvPvPKfPKiS6_PiPfii+0x5458>
	s_movk_i32 s0, 0x100                                       // 000000005D98: B0000100
	v_cmp_gt_u32_e32 vcc, s0, v6                               // 000000005D9C: 7D980C00
	s_and_saveexec_b64 s[28:29], vcc                           // 000000005DA0: BE9C206A
	s_cbranch_execz 1195                                       // 000000005DA4: BF8804AB <_ZN5aiter11PrefillTopKL10topKPerRowILi1024ELi2048ELi2048ELi512EEEvPvPKfPKiS6_PiPfii+0x5454>
	v_cmp_gt_i32_e32 vcc, s57, v6                              // 000000005DA8: 7D880C39
	v_mov_b32_e32 v1, 0xff7fffff                               // 000000005DAC: 7E0202FF FF7FFFFF
	s_and_saveexec_b64 s[0:1], vcc                             // 000000005DB4: BE80206A
	s_cbranch_execz 2                                          // 000000005DB8: BF880002 <_ZN5aiter11PrefillTopKL10topKPerRowILi1024ELi2048ELi2048ELi512EEEvPvPKfPKiS6_PiPfii+0x41c4>
	ds_read_b32 v1, v18 offset:10240                           // 000000005DBC: D86C2800 01000012
	s_or_b64 exec, exec, s[0:1]                                // 000000005DC4: 87FE007E
	v_mov_b32_e32 v5, -1                                       // 000000005DC8: 7E0A02C1
	s_and_saveexec_b64 s[0:1], vcc                             // 000000005DCC: BE80206A
	s_cbranch_execz 2                                          // 000000005DD0: BF880002 <_ZN5aiter11PrefillTopKL10topKPerRowILi1024ELi2048ELi2048ELi512EEEvPvPKfPKiS6_PiPfii+0x41dc>
	ds_read_b32 v5, v18 offset:8192                            // 000000005DD4: D86C2000 05000012
	s_or_b64 exec, exec, s[0:1]                                // 000000005DDC: 87FE007E
	v_mbcnt_lo_u32_b32 v0, -1, 0                               // 000000005DE0: D28C0000 000100C1
	v_mbcnt_hi_u32_b32 v2, -1, v0                              // 000000005DE8: D28D0002 000200C1
	v_and_b32_e32 v0, 64, v2                                   // 000000005DF0: 260004C0
	v_add_u32_e32 v3, 64, v0                                   // 000000005DF4: 680600C0
	v_xor_b32_e32 v0, 1, v2                                    // 000000005DF8: 2A000481
	v_cmp_lt_i32_e32 vcc, v0, v3                               // 000000005DFC: 7D820700
	s_nop 1                                                    // 000000005E00: BF800001
	v_cndmask_b32_e32 v0, v2, v0, vcc                          // 000000005E04: 00000102
	v_lshlrev_b32_e32 v0, 2, v0                                // 000000005E08: 24000082
	s_waitcnt lgkmcnt(0)                                       // 000000005E0C: BF8CC07F
	ds_bpermute_b32 v7, v0, v1                                 // 000000005E10: D87E0000 07000100
	ds_bpermute_b32 v8, v0, v5                                 // 000000005E18: D87E0000 08000500
	s_mov_b64 s[16:17], -1                                     // 000000005E20: BE9001C1
	s_waitcnt lgkmcnt(1)                                       // 000000005E24: BF8CC17F
	v_cmp_ngt_f32_e32 vcc, v1, v7                              // 000000005E28: 7C960F01
	s_mov_b64 s[0:1], -1                                       // 000000005E2C: BE8001C1
	s_and_saveexec_b64 s[4:5], vcc                             // 000000005E30: BE84206A
	s_cbranch_execz 6                                          // 000000005E34: BF880006 <_ZN5aiter11PrefillTopKL10topKPerRowILi1024ELi2048ELi2048ELi512EEEvPvPKfPKiS6_PiPfii+0x4250>
	s_waitcnt lgkmcnt(0)                                       // 000000005E38: BF8CC07F
	v_cmp_lt_i32_e32 vcc, v8, v5                               // 000000005E3C: 7D820B08
	v_cmp_eq_f32_e64 s[0:1], v1, v7                            // 000000005E40: D0420000 00020F01
	s_and_b64 s[0:1], vcc, s[0:1]                              // 000000005E48: 8680006A
	s_orn2_b64 s[0:1], s[0:1], exec                            // 000000005E4C: 8A807E00
	s_or_b64 exec, exec, s[4:5]                                // 000000005E50: 87FE047E
	v_and_b32_e32 v9, 64, v6                                   // 000000005E54: 26120CC0
	v_cmp_ne_u32_e32 vcc, 0, v9                                // 000000005E58: 7D9A1280
	v_and_b32_e32 v9, 2, v6                                    // 000000005E5C: 26120C82
	v_cmp_ne_u32_e64 s[10:11], 0, v9                           // 000000005E60: D0CD000A 00021280
	v_and_b32_e32 v9, 1, v6                                    // 000000005E68: 26120C81
	v_cmp_eq_u32_e64 s[4:5], 1, v9                             // 000000005E6C: D0CA0004 00021281
	s_xor_b64 s[0:1], s[10:11], s[0:1]                         // 000000005E74: 8880000A
	s_xor_b64 s[0:1], s[4:5], s[0:1]                           // 000000005E78: 88800004
	s_xor_b64 s[0:1], vcc, s[0:1]                              // 000000005E7C: 8880006A
	v_cndmask_b32_e64 v7, v1, v7, s[0:1]                       // 000000005E80: D1000007 00020F01
	s_waitcnt lgkmcnt(0)                                       // 000000005E88: BF8CC07F
	v_cndmask_b32_e64 v5, v5, v8, s[0:1]                       // 000000005E8C: D1000005 00021105
	v_xor_b32_e32 v1, 2, v2                                    // 000000005E94: 2A020482
	v_cmp_lt_i32_e64 s[0:1], v1, v3                            // 000000005E98: D0C10000 00020701
	s_nop 1                                                    // 000000005EA0: BF800001
	v_cndmask_b32_e64 v1, v2, v1, s[0:1]                       // 000000005EA4: D1000001 00020302
	v_lshlrev_b32_e32 v1, 2, v1                                // 000000005EAC: 24020282
	ds_bpermute_b32 v9, v1, v7                                 // 000000005EB0: D87E0000 09000701
	ds_bpermute_b32 v8, v1, v5                                 // 000000005EB8: D87E0000 08000501
	s_waitcnt lgkmcnt(1)                                       // 000000005EC0: BF8CC17F
	v_cmp_ngt_f32_e64 s[0:1], v7, v9                           // 000000005EC4: D04B0000 00021307
	s_and_saveexec_b64 s[14:15], s[0:1]                        // 000000005ECC: BE8E2000
	s_xor_b64 s[18:19], exec, s[14:15]                         // 000000005ED0: 88920E7E
	s_cbranch_execz 7                                          // 000000005ED4: BF880007 <_ZN5aiter11PrefillTopKL10topKPerRowILi1024ELi2048ELi2048ELi512EEEvPvPKfPKiS6_PiPfii+0x42f4>
	s_waitcnt lgkmcnt(0)                                       // 000000005ED8: BF8CC07F
	v_cmp_lt_i32_e64 s[0:1], v8, v5                            // 000000005EDC: D0C10000 00020B08
	v_cmp_eq_f32_e64 s[14:15], v7, v9                          // 000000005EE4: D042000E 00021307
	s_and_b64 s[0:1], s[0:1], s[14:15]                         // 000000005EEC: 86800E00
	s_orn2_b64 s[16:17], s[0:1], exec                          // 000000005EF0: 8A907E00
	s_or_b64 exec, exec, s[18:19]                              // 000000005EF4: 87FE127E
	v_and_b32_e32 v10, 4, v6                                   // 000000005EF8: 26140C84
	v_cmp_ne_u32_e64 s[14:15], 0, v10                          // 000000005EFC: D0CD000E 00021480
	s_xor_b64 s[20:21], vcc, s[14:15]                          // 000000005F04: 88940E6A
	s_xor_b64 s[0:1], s[10:11], s[16:17]                       // 000000005F08: 8880100A
	s_xor_b64 s[0:1], s[20:21], s[0:1]                         // 000000005F0C: 88800014
	v_cndmask_b32_e64 v7, v7, v9, s[0:1]                       // 000000005F10: D1000007 00021307
	ds_bpermute_b32 v9, v0, v7                                 // 000000005F18: D87E0000 09000700
	s_waitcnt lgkmcnt(1)                                       // 000000005F20: BF8CC17F
	v_cndmask_b32_e64 v5, v5, v8, s[0:1]                       // 000000005F24: D1000005 00021105
	ds_bpermute_b32 v10, v0, v5                                // 000000005F2C: D87E0000 0A000500
	s_waitcnt lgkmcnt(1)                                       // 000000005F34: BF8CC17F
	v_cmp_ngt_f32_e64 s[0:1], v7, v9                           // 000000005F38: D04B0000 00021307
	s_mov_b64 s[18:19], -1                                     // 000000005F40: BE9201C1
	s_mov_b64 s[16:17], -1                                     // 000000005F44: BE9001C1
	s_and_saveexec_b64 s[22:23], s[0:1]                        // 000000005F48: BE962000
	s_cbranch_execz 7                                          // 000000005F4C: BF880007 <_ZN5aiter11PrefillTopKL10topKPerRowILi1024ELi2048ELi2048ELi512EEEvPvPKfPKiS6_PiPfii+0x436c>
	s_waitcnt lgkmcnt(0)                                       // 000000005F50: BF8CC07F
	v_cmp_lt_i32_e64 s[0:1], v10, v5                           // 000000005F54: D0C10000 00020B0A
	v_cmp_eq_f32_e64 s[16:17], v7, v9                          // 000000005F5C: D0420010 00021307
	s_and_b64 s[0:1], s[0:1], s[16:17]                         // 000000005F64: 86801000
	s_orn2_b64 s[16:17], s[0:1], exec                          // 000000005F68: 8A907E00
	s_or_b64 exec, exec, s[22:23]                              // 000000005F6C: 87FE167E
	s_xor_b64 s[0:1], s[4:5], s[16:17]                         // 000000005F70: 88801004
	s_xor_b64 s[0:1], s[20:21], s[0:1]                         // 000000005F74: 88800014
	v_cndmask_b32_e64 v8, v7, v9, s[0:1]                       // 000000005F78: D1000008 00021307
	s_waitcnt lgkmcnt(0)                                       // 000000005F80: BF8CC07F
	v_cndmask_b32_e64 v7, v5, v10, s[0:1]                      // 000000005F84: D1000007 00021505
	v_xor_b32_e32 v5, 4, v2                                    // 000000005F8C: 2A0A0484
	v_cmp_lt_i32_e64 s[0:1], v5, v3                            // 000000005F90: D0C10000 00020705
	s_nop 1                                                    // 000000005F98: BF800001
	v_cndmask_b32_e64 v5, v2, v5, s[0:1]                       // 000000005F9C: D1000005 00020B02
	v_lshlrev_b32_e32 v5, 2, v5                                // 000000005FA4: 240A0A82
	ds_bpermute_b32 v10, v5, v8                                // 000000005FA8: D87E0000 0A000805
	ds_bpermute_b32 v9, v5, v7                                 // 000000005FB0: D87E0000 09000705
	s_waitcnt lgkmcnt(1)                                       // 000000005FB8: BF8CC17F
	v_cmp_ngt_f32_e64 s[0:1], v8, v10                          // 000000005FBC: D04B0000 00021508
	s_and_saveexec_b64 s[20:21], s[0:1]                        // 000000005FC4: BE942000
	s_cbranch_execz 7                                          // 000000005FC8: BF880007 <_ZN5aiter11PrefillTopKL10topKPerRowILi1024ELi2048ELi2048ELi512EEEvPvPKfPKiS6_PiPfii+0x43e8>
	s_waitcnt lgkmcnt(0)                                       // 000000005FCC: BF8CC07F
	v_cmp_lt_i32_e64 s[0:1], v9, v7                            // 000000005FD0: D0C10000 00020F09
	v_cmp_eq_f32_e64 s[16:17], v8, v10                         // 000000005FD8: D0420010 00021508
	s_and_b64 s[0:1], s[0:1], s[16:17]                         // 000000005FE0: 86801000
	s_orn2_b64 s[18:19], s[0:1], exec                          // 000000005FE4: 8A927E00
	s_or_b64 exec, exec, s[20:21]                              // 000000005FE8: 87FE147E
	v_and_b32_e32 v11, 8, v6                                   // 000000005FEC: 26160C88
	v_cmp_ne_u32_e64 s[16:17], 0, v11                          // 000000005FF0: D0CD0010 00021680
	s_xor_b64 s[20:21], vcc, s[16:17]                          // 000000005FF8: 8894106A
	s_xor_b64 s[0:1], s[14:15], s[18:19]                       // 000000005FFC: 8880120E
	s_xor_b64 s[0:1], s[20:21], s[0:1]                         // 000000006000: 88800014
	v_cndmask_b32_e64 v8, v8, v10, s[0:1]                      // 000000006004: D1000008 00021508
	ds_bpermute_b32 v10, v1, v8                                // 00000000600C: D87E0000 0A000801
	s_waitcnt lgkmcnt(1)                                       // 000000006014: BF8CC17F
	v_cndmask_b32_e64 v9, v7, v9, s[0:1]                       // 000000006018: D1000009 00021307
	ds_bpermute_b32 v11, v1, v9                                // 000000006020: D87E0000 0B000901
	s_waitcnt lgkmcnt(1)                                       // 000000006028: BF8CC17F
	v_cmp_ngt_f32_e64 s[0:1], v8, v10                          // 00000000602C: D04B0000 00021508
	s_mov_b64 s[22:23], -1                                     // 000000006034: BE9601C1
	s_mov_b64 s[18:19], -1                                     // 000000006038: BE9201C1
	s_and_saveexec_b64 s[30:31], s[0:1]                        // 00000000603C: BE9E2000
	s_cbranch_execz 7                                          // 000000006040: BF880007 <_ZN5aiter11PrefillTopKL10topKPerRowILi1024ELi2048ELi2048ELi512EEEvPvPKfPKiS6_PiPfii+0x4460>
	s_waitcnt lgkmcnt(0)                                       // 000000006044: BF8CC07F
	v_cmp_lt_i32_e64 s[0:1], v11, v9                           // 000000006048: D0C10000 0002130B
	v_cmp_eq_f32_e64 s[18:19], v8, v10                         // 000000006050: D0420012 00021508
	s_and_b64 s[0:1], s[0:1], s[18:19]                         // 000000006058: 86801200
	s_orn2_b64 s[18:19], s[0:1], exec                          // 00000000605C: 8A927E00
	s_or_b64 exec, exec, s[30:31]                              // 000000006060: 87FE1E7E
	s_xor_b64 s[0:1], s[10:11], s[18:19]                       // 000000006064: 8880120A
	s_xor_b64 s[0:1], s[20:21], s[0:1]                         // 000000006068: 88800014
	v_cndmask_b32_e64 v7, v8, v10, s[0:1]                      // 00000000606C: D1000007 00021508
	s_waitcnt lgkmcnt(0)                                       // 000000006074: BF8CC07F
	v_cndmask_b32_e64 v9, v9, v11, s[0:1]                      // 000000006078: D1000009 00021709
	ds_bpermute_b32 v8, v0, v7                                 // 000000006080: D87E0000 08000700
	ds_bpermute_b32 v10, v0, v9                                // 000000006088: D87E0000 0A000900
	s_waitcnt lgkmcnt(1)                                       // 000000006090: BF8CC17F
	v_cmp_ngt_f32_e64 s[0:1], v7, v8                           // 000000006094: D04B0000 00021107
	s_and_saveexec_b64 s[30:31], s[0:1]                        // 00000000609C: BE9E2000
	s_cbranch_execz 7                                          // 0000000060A0: BF880007 <_ZN5aiter11PrefillTopKL10topKPerRowILi1024ELi2048ELi2048ELi512EEEvPvPKfPKiS6_PiPfii+0x44c0>
	s_waitcnt lgkmcnt(0)                                       // 0000000060A4: BF8CC07F
	v_cmp_lt_i32_e64 s[0:1], v10, v9                           // 0000000060A8: D0C10000 0002130A
	v_cmp_eq_f32_e64 s[18:19], v7, v8                          // 0000000060B0: D0420012 00021107
	s_and_b64 s[0:1], s[0:1], s[18:19]                         // 0000000060B8: 86801200
	s_orn2_b64 s[22:23], s[0:1], exec                          // 0000000060BC: 8A967E00
	s_or_b64 exec, exec, s[30:31]                              // 0000000060C0: 87FE1E7E
	s_xor_b64 s[0:1], s[4:5], s[22:23]                         // 0000000060C4: 88801604
	s_xor_b64 s[0:1], s[20:21], s[0:1]                         // 0000000060C8: 88800014
	v_cndmask_b32_e64 v8, v7, v8, s[0:1]                       // 0000000060CC: D1000008 00021107
	v_xor_b32_e32 v7, 8, v2                                    // 0000000060D4: 2A0E0488
	v_cmp_lt_i32_e64 s[18:19], v7, v3                          // 0000000060D8: D0C10012 00020707
	s_nop 1                                                    // 0000000060E0: BF800001
	v_cndmask_b32_e64 v7, v2, v7, s[18:19]                     // 0000000060E4: D1000007 004A0F02
	v_lshlrev_b32_e32 v7, 2, v7                                // 0000000060EC: 240E0E82
	ds_bpermute_b32 v11, v7, v8                                // 0000000060F0: D87E0000 0B000807
	s_waitcnt lgkmcnt(1)                                       // 0000000060F8: BF8CC17F
	v_cndmask_b32_e64 v9, v9, v10, s[0:1]                      // 0000000060FC: D1000009 00021509
	ds_bpermute_b32 v10, v7, v9                                // 000000006104: D87E0000 0A000907
	s_waitcnt lgkmcnt(1)                                       // 00000000610C: BF8CC17F
	v_cmp_ngt_f32_e64 s[0:1], v8, v11                          // 000000006110: D04B0000 00021708
	s_mov_b64 s[20:21], -1                                     // 000000006118: BE9401C1
	s_mov_b64 s[18:19], -1                                     // 00000000611C: BE9201C1
	s_and_saveexec_b64 s[22:23], s[0:1]                        // 000000006120: BE962000
	s_cbranch_execz 7                                          // 000000006124: BF880007 <_ZN5aiter11PrefillTopKL10topKPerRowILi1024ELi2048ELi2048ELi512EEEvPvPKfPKiS6_PiPfii+0x4544>
	s_waitcnt lgkmcnt(0)                                       // 000000006128: BF8CC07F
	v_cmp_lt_i32_e64 s[0:1], v10, v9                           // 00000000612C: D0C10000 0002130A
	v_cmp_eq_f32_e64 s[18:19], v8, v11                         // 000000006134: D0420012 00021708
	s_and_b64 s[0:1], s[0:1], s[18:19]                         // 00000000613C: 86801200
	s_orn2_b64 s[18:19], s[0:1], exec                          // 000000006140: 8A927E00
	s_or_b64 exec, exec, s[22:23]                              // 000000006144: 87FE167E
	v_and_b32_e32 v12, 16, v6                                  // 000000006148: 26180C90
	v_cmp_ne_u32_e64 s[0:1], 0, v12                            // 00000000614C: D0CD0000 00021880
	s_xor_b64 s[22:23], vcc, s[0:1]                            // 000000006154: 8896006A
	s_xor_b64 s[18:19], s[16:17], s[18:19]                     // 000000006158: 88921210
	s_xor_b64 s[18:19], s[22:23], s[18:19]                     // 00000000615C: 88921216
	v_cndmask_b32_e64 v11, v8, v11, s[18:19]                   // 000000006160: D100000B 004A1708
	s_waitcnt lgkmcnt(0)                                       // 000000006168: BF8CC07F
	v_cndmask_b32_e64 v8, v9, v10, s[18:19]                    // 00000000616C: D1000008 004A1509
	ds_bpermute_b32 v9, v5, v11                                // 000000006174: D87E0000 09000B05
	ds_bpermute_b32 v10, v5, v8                                // 00000000617C: D87E0000 0A000805
	s_waitcnt lgkmcnt(1)                                       // 000000006184: BF8CC17F
	v_cmp_ngt_f32_e64 s[18:19], v11, v9                        // 000000006188: D04B0012 0002130B
	s_and_saveexec_b64 s[30:31], s[18:19]                      // 000000006190: BE9E2012
	s_cbranch_execz 7                                          // 000000006194: BF880007 <_ZN5aiter11PrefillTopKL10topKPerRowILi1024ELi2048ELi2048ELi512EEEvPvPKfPKiS6_PiPfii+0x45b4>
	s_waitcnt lgkmcnt(0)                                       // 000000006198: BF8CC07F
	v_cmp_lt_i32_e64 s[18:19], v10, v8                         // 00000000619C: D0C10012 0002110A
	v_cmp_eq_f32_e64 s[20:21], v11, v9                         // 0000000061A4: D0420014 0002130B
	s_and_b64 s[18:19], s[18:19], s[20:21]                     // 0000000061AC: 86921412
	s_orn2_b64 s[20:21], s[18:19], exec                        // 0000000061B0: 8A947E12
	s_or_b64 exec, exec, s[30:31]                              // 0000000061B4: 87FE1E7E
	s_xor_b64 s[18:19], s[14:15], s[20:21]                     // 0000000061B8: 8892140E
	s_xor_b64 s[18:19], s[22:23], s[18:19]                     // 0000000061BC: 88921216
	v_cndmask_b32_e64 v9, v11, v9, s[18:19]                    // 0000000061C0: D1000009 004A130B
	ds_bpermute_b32 v11, v1, v9                                // 0000000061C8: D87E0000 0B000901
	s_waitcnt lgkmcnt(1)                                       // 0000000061D0: BF8CC17F
	v_cndmask_b32_e64 v8, v8, v10, s[18:19]                    // 0000000061D4: D1000008 004A1508
	ds_bpermute_b32 v10, v1, v8                                // 0000000061DC: D87E0000 0A000801
	s_mov_b64 s[30:31], -1                                     // 0000000061E4: BE9E01C1
	s_waitcnt lgkmcnt(1)                                       // 0000000061E8: BF8CC17F
	v_cmp_ngt_f32_e64 s[18:19], v9, v11                        // 0000000061EC: D04B0012 00021709
	s_mov_b64 s[20:21], -1                                     // 0000000061F4: BE9401C1
	s_and_saveexec_b64 s[42:43], s[18:19]                      // 0000000061F8: BEAA2012
	s_cbranch_execz 7                                          // 0000000061FC: BF880007 <_ZN5aiter11PrefillTopKL10topKPerRowILi1024ELi2048ELi2048ELi512EEEvPvPKfPKiS6_PiPfii+0x461c>
	s_waitcnt lgkmcnt(0)                                       // 000000006200: BF8CC07F
	v_cmp_lt_i32_e64 s[18:19], v10, v8                         // 000000006204: D0C10012 0002110A
	v_cmp_eq_f32_e64 s[20:21], v9, v11                         // 00000000620C: D0420014 00021709
	s_and_b64 s[18:19], s[18:19], s[20:21]                     // 000000006214: 86921412
	s_orn2_b64 s[20:21], s[18:19], exec                        // 000000006218: 8A947E12
	s_or_b64 exec, exec, s[42:43]                              // 00000000621C: 87FE2A7E
	s_xor_b64 s[18:19], s[10:11], s[20:21]                     // 000000006220: 8892140A
	s_xor_b64 s[18:19], s[22:23], s[18:19]                     // 000000006224: 88921216
	v_cndmask_b32_e64 v9, v9, v11, s[18:19]                    // 000000006228: D1000009 004A1709
	s_waitcnt lgkmcnt(0)                                       // 000000006230: BF8CC07F
	v_cndmask_b32_e64 v10, v8, v10, s[18:19]                   // 000000006234: D100000A 004A1508
	ds_bpermute_b32 v8, v0, v9                                 // 00000000623C: D87E0000 08000900
	ds_bpermute_b32 v11, v0, v10                               // 000000006244: D87E0000 0B000A00
	s_waitcnt lgkmcnt(1)                                       // 00000000624C: BF8CC17F
	v_cmp_ngt_f32_e64 s[18:19], v9, v8                         // 000000006250: D04B0012 00021109
	s_and_saveexec_b64 s[42:43], s[18:19]                      // 000000006258: BEAA2012
	s_cbranch_execz 7                                          // 00000000625C: BF880007 <_ZN5aiter11PrefillTopKL10topKPerRowILi1024ELi2048ELi2048ELi512EEEvPvPKfPKiS6_PiPfii+0x467c>
	s_waitcnt lgkmcnt(0)                                       // 000000006260: BF8CC07F
	v_cmp_lt_i32_e64 s[18:19], v11, v10                        // 000000006264: D0C10012 0002150B
	v_cmp_eq_f32_e64 s[20:21], v9, v8                          // 00000000626C: D0420014 00021109
	s_and_b64 s[18:19], s[18:19], s[20:21]                     // 000000006274: 86921412
	s_orn2_b64 s[30:31], s[18:19], exec                        // 000000006278: 8A9E7E12
	s_or_b64 exec, exec, s[42:43]                              // 00000000627C: 87FE2A7E
	s_xor_b64 s[18:19], s[4:5], s[30:31]                       // 000000006280: 88921E04
	s_xor_b64 s[18:19], s[22:23], s[18:19]                     // 000000006284: 88921216
	v_cndmask_b32_e64 v9, v9, v8, s[18:19]                     // 000000006288: D1000009 004A1109
	v_xor_b32_e32 v8, 16, v2                                   // 000000006290: 2A100490
	v_cmp_lt_i32_e64 s[20:21], v8, v3                          // 000000006294: D0C10014 00020708
	s_nop 1                                                    // 00000000629C: BF800001
	v_cndmask_b32_e64 v8, v2, v8, s[20:21]                     // 0000000062A0: D1000008 00521102
	v_lshlrev_b32_e32 v8, 2, v8                                // 0000000062A8: 24101082
	ds_bpermute_b32 v12, v8, v9                                // 0000000062AC: D87E0000 0C000908
	s_waitcnt lgkmcnt(1)                                       // 0000000062B4: BF8CC17F
	v_cndmask_b32_e64 v10, v10, v11, s[18:19]                  // 0000000062B8: D100000A 004A170A
	ds_bpermute_b32 v11, v8, v10                               // 0000000062C0: D87E0000 0B000A08
	s_waitcnt lgkmcnt(1)                                       // 0000000062C8: BF8CC17F
	v_cmp_ngt_f32_e64 s[18:19], v9, v12                        // 0000000062CC: D04B0012 00021909
	s_mov_b64 s[22:23], -1                                     // 0000000062D4: BE9601C1
	s_mov_b64 s[20:21], -1                                     // 0000000062D8: BE9401C1
	s_and_saveexec_b64 s[30:31], s[18:19]                      // 0000000062DC: BE9E2012
	s_cbranch_execz 7                                          // 0000000062E0: BF880007 <_ZN5aiter11PrefillTopKL10topKPerRowILi1024ELi2048ELi2048ELi512EEEvPvPKfPKiS6_PiPfii+0x4700>
	s_waitcnt lgkmcnt(0)                                       // 0000000062E4: BF8CC07F
	v_cmp_lt_i32_e64 s[18:19], v11, v10                        // 0000000062E8: D0C10012 0002150B
	v_cmp_eq_f32_e64 s[20:21], v9, v12                         // 0000000062F0: D0420014 00021909
	s_and_b64 s[18:19], s[18:19], s[20:21]                     // 0000000062F8: 86921412
	s_orn2_b64 s[20:21], s[18:19], exec                        // 0000000062FC: 8A947E12
	s_or_b64 exec, exec, s[30:31]                              // 000000006300: 87FE1E7E
	v_and_b32_e32 v13, 32, v6                                  // 000000006304: 261A0CA0
	v_cmp_ne_u32_e64 s[18:19], 0, v13                          // 000000006308: D0CD0012 00021A80
	s_xor_b64 s[30:31], vcc, s[18:19]                          // 000000006310: 889E126A
	s_xor_b64 s[20:21], s[0:1], s[20:21]                       // 000000006314: 88941400
	s_xor_b64 s[20:21], s[30:31], s[20:21]                     // 000000006318: 8894141E
	v_cndmask_b32_e64 v12, v9, v12, s[20:21]                   // 00000000631C: D100000C 00521909
	s_waitcnt lgkmcnt(0)                                       // 000000006324: BF8CC07F
	v_cndmask_b32_e64 v9, v10, v11, s[20:21]                   // 000000006328: D1000009 0052170A
	ds_bpermute_b32 v10, v7, v12                               // 000000006330: D87E0000 0A000C07
	ds_bpermute_b32 v11, v7, v9                                // 000000006338: D87E0000 0B000907
	s_waitcnt lgkmcnt(1)                                       // 000000006340: BF8CC17F
	v_cmp_ngt_f32_e64 s[20:21], v12, v10                       // 000000006344: D04B0014 0002150C
	s_and_saveexec_b64 s[42:43], s[20:21]                      // 00000000634C: BEAA2014
	s_cbranch_execz 7                                          // 000000006350: BF880007 <_ZN5aiter11PrefillTopKL10topKPerRowILi1024ELi2048ELi2048ELi512EEEvPvPKfPKiS6_PiPfii+0x4770>
	s_waitcnt lgkmcnt(0)                                       // 000000006354: BF8CC07F
	v_cmp_lt_i32_e64 s[20:21], v11, v9                         // 000000006358: D0C10014 0002130B
	v_cmp_eq_f32_e64 s[22:23], v12, v10                        // 000000006360: D0420016 0002150C
	s_and_b64 s[20:21], s[20:21], s[22:23]                     // 000000006368: 86941614
	s_orn2_b64 s[22:23], s[20:21], exec                        // 00000000636C: 8A967E14
	s_or_b64 exec, exec, s[42:43]                              // 000000006370: 87FE2A7E
	s_xor_b64 s[20:21], s[16:17], s[22:23]                     // 000000006374: 88941610
	s_xor_b64 s[20:21], s[30:31], s[20:21]                     // 000000006378: 8894141E
	v_cndmask_b32_e64 v10, v12, v10, s[20:21]                  // 00000000637C: D100000A 0052150C
	ds_bpermute_b32 v12, v5, v10                               // 000000006384: D87E0000 0C000A05
	s_waitcnt lgkmcnt(1)                                       // 00000000638C: BF8CC17F
	v_cndmask_b32_e64 v9, v9, v11, s[20:21]                    // 000000006390: D1000009 00521709
	ds_bpermute_b32 v11, v5, v9                                // 000000006398: D87E0000 0B000905
	s_mov_b64 s[42:43], -1                                     // 0000000063A0: BEAA01C1
	s_waitcnt lgkmcnt(1)                                       // 0000000063A4: BF8CC17F
	v_cmp_ngt_f32_e64 s[20:21], v10, v12                       // 0000000063A8: D04B0014 0002190A
	s_mov_b64 s[22:23], -1                                     // 0000000063B0: BE9601C1
	s_and_saveexec_b64 s[44:45], s[20:21]                      // 0000000063B4: BEAC2014
	s_cbranch_execz 7                                          // 0000000063B8: BF880007 <_ZN5aiter11PrefillTopKL10topKPerRowILi1024ELi2048ELi2048ELi512EEEvPvPKfPKiS6_PiPfii+0x47d8>
	s_waitcnt lgkmcnt(0)                                       // 0000000063BC: BF8CC07F
	v_cmp_lt_i32_e64 s[20:21], v11, v9                         // 0000000063C0: D0C10014 0002130B
	v_cmp_eq_f32_e64 s[22:23], v10, v12                        // 0000000063C8: D0420016 0002190A
	s_and_b64 s[20:21], s[20:21], s[22:23]                     // 0000000063D0: 86941614
	s_orn2_b64 s[22:23], s[20:21], exec                        // 0000000063D4: 8A967E14
	s_or_b64 exec, exec, s[44:45]                              // 0000000063D8: 87FE2C7E
	s_xor_b64 s[20:21], s[14:15], s[22:23]                     // 0000000063DC: 8894160E
	s_xor_b64 s[20:21], s[30:31], s[20:21]                     // 0000000063E0: 8894141E
	v_cndmask_b32_e64 v10, v10, v12, s[20:21]                  // 0000000063E4: D100000A 0052190A
	s_waitcnt lgkmcnt(0)                                       // 0000000063EC: BF8CC07F
	v_cndmask_b32_e64 v9, v9, v11, s[20:21]                    // 0000000063F0: D1000009 00521709
	ds_bpermute_b32 v12, v1, v10                               // 0000000063F8: D87E0000 0C000A01
	ds_bpermute_b32 v11, v1, v9                                // 000000006400: D87E0000 0B000901
	s_waitcnt lgkmcnt(1)                                       // 000000006408: BF8CC17F
	v_cmp_ngt_f32_e64 s[20:21], v10, v12                       // 00000000640C: D04B0014 0002190A
	s_and_saveexec_b64 s[44:45], s[20:21]                      // 000000006414: BEAC2014
	s_cbranch_execz 7                                          // 000000006418: BF880007 <_ZN5aiter11PrefillTopKL10topKPerRowILi1024ELi2048ELi2048ELi512EEEvPvPKfPKiS6_PiPfii+0x4838>
	s_waitcnt lgkmcnt(0)                                       // 00000000641C: BF8CC07F
	v_cmp_lt_i32_e64 s[20:21], v11, v9                         // 000000006420: D0C10014 0002130B
	v_cmp_eq_f32_e64 s[22:23], v10, v12                        // 000000006428: D0420016 0002190A
	s_and_b64 s[20:21], s[20:21], s[22:23]                     // 000000006430: 86941614
	s_orn2_b64 s[42:43], s[20:21], exec                        // 000000006434: 8AAA7E14
	s_or_b64 exec, exec, s[44:45]                              // 000000006438: 87FE2C7E
	s_xor_b64 s[20:21], s[10:11], s[42:43]                     // 00000000643C: 88942A0A
	s_xor_b64 s[20:21], s[30:31], s[20:21]                     // 000000006440: 8894141E
	v_cndmask_b32_e64 v10, v10, v12, s[20:21]                  // 000000006444: D100000A 0052190A
	ds_bpermute_b32 v12, v0, v10                               // 00000000644C: D87E0000 0C000A00
	s_waitcnt lgkmcnt(1)                                       // 000000006454: BF8CC17F
	v_cndmask_b32_e64 v9, v9, v11, s[20:21]                    // 000000006458: D1000009 00521709
	ds_bpermute_b32 v11, v0, v9                                // 000000006460: D87E0000 0B000900
	s_mov_b64 s[42:43], -1                                     // 000000006468: BEAA01C1
	s_waitcnt lgkmcnt(1)                                       // 00000000646C: BF8CC17F
	v_cmp_ngt_f32_e64 s[20:21], v10, v12                       // 000000006470: D04B0014 0002190A
	s_mov_b64 s[22:23], -1                                     // 000000006478: BE9601C1
	s_and_saveexec_b64 s[44:45], s[20:21]                      // 00000000647C: BEAC2014
	s_cbranch_execz 7                                          // 000000006480: BF880007 <_ZN5aiter11PrefillTopKL10topKPerRowILi1024ELi2048ELi2048ELi512EEEvPvPKfPKiS6_PiPfii+0x48a0>
	s_waitcnt lgkmcnt(0)                                       // 000000006484: BF8CC07F
	v_cmp_lt_i32_e64 s[20:21], v11, v9                         // 000000006488: D0C10014 0002130B
	v_cmp_eq_f32_e64 s[22:23], v10, v12                        // 000000006490: D0420016 0002190A
	s_and_b64 s[20:21], s[20:21], s[22:23]                     // 000000006498: 86941614
	s_orn2_b64 s[22:23], s[20:21], exec                        // 00000000649C: 8A967E14
	s_or_b64 exec, exec, s[44:45]                              // 0000000064A0: 87FE2C7E
	s_xor_b64 s[20:21], s[4:5], s[22:23]                       // 0000000064A4: 88941604
	s_xor_b64 s[20:21], s[30:31], s[20:21]                     // 0000000064A8: 8894141E
	v_cndmask_b32_e64 v10, v10, v12, s[20:21]                  // 0000000064AC: D100000A 0052190A
	s_waitcnt lgkmcnt(0)                                       // 0000000064B4: BF8CC07F
	v_cndmask_b32_e64 v9, v9, v11, s[20:21]                    // 0000000064B8: D1000009 00521709
	v_xor_b32_e32 v11, 32, v2                                  // 0000000064C0: 2A1604A0
	v_cmp_lt_i32_e64 s[20:21], v11, v3                         // 0000000064C4: D0C10014 0002070B
	s_nop 1                                                    // 0000000064CC: BF800001
	v_cndmask_b32_e64 v2, v2, v11, s[20:21]                    // 0000000064D0: D1000002 00521702
	v_lshlrev_b32_e32 v3, 2, v2                                // 0000000064D8: 24060482
	ds_bpermute_b32 v2, v3, v10                                // 0000000064DC: D87E0000 02000A03
	ds_bpermute_b32 v3, v3, v9                                 // 0000000064E4: D87E0000 03000903
	s_waitcnt lgkmcnt(1)                                       // 0000000064EC: BF8CC17F
	v_cmp_ngt_f32_e64 s[20:21], v10, v2                        // 0000000064F0: D04B0014 0002050A
	s_and_saveexec_b64 s[30:31], s[20:21]                      // 0000000064F8: BE9E2014
	s_cbranch_execz 7                                          // 0000000064FC: BF880007 <_ZN5aiter11PrefillTopKL10topKPerRowILi1024ELi2048ELi2048ELi512EEEvPvPKfPKiS6_PiPfii+0x491c>
	s_waitcnt lgkmcnt(0)                                       // 000000006500: BF8CC07F
	v_cmp_lt_i32_e64 s[20:21], v3, v9                          // 000000006504: D0C10014 00021303
	v_cmp_eq_f32_e64 s[22:23], v10, v2                         // 00000000650C: D0420016 0002050A
	s_and_b64 s[20:21], s[20:21], s[22:23]                     // 000000006514: 86941614
	s_orn2_b64 s[42:43], s[20:21], exec                        // 000000006518: 8AAA7E14
	s_or_b64 exec, exec, s[30:31]                              // 00000000651C: 87FE1E7E
	s_xor_b64 s[18:19], s[18:19], s[42:43]                     // 000000006520: 88922A12
	s_xor_b64 s[18:19], vcc, s[18:19]                          // 000000006524: 8892126A
	v_cndmask_b32_e64 v2, v10, v2, s[18:19]                    // 000000006528: D1000002 004A050A
	ds_bpermute_b32 v10, v8, v2                                // 000000006530: D87E0000 0A000208
	s_waitcnt lgkmcnt(1)                                       // 000000006538: BF8CC17F
	v_cndmask_b32_e64 v3, v9, v3, s[18:19]                     // 00000000653C: D1000003 004A0709
	ds_bpermute_b32 v9, v8, v3                                 // 000000006544: D87E0000 09000308
	s_mov_b64 s[22:23], -1                                     // 00000000654C: BE9601C1
	s_waitcnt lgkmcnt(1)                                       // 000000006550: BF8CC17F
	v_cmp_ngt_f32_e64 s[18:19], v2, v10                        // 000000006554: D04B0012 00021502
	s_mov_b64 s[20:21], -1                                     // 00000000655C: BE9401C1
	s_and_saveexec_b64 s[30:31], s[18:19]                      // 000000006560: BE9E2012
	s_cbranch_execz 7                                          // 000000006564: BF880007 <_ZN5aiter11PrefillTopKL10topKPerRowILi1024ELi2048ELi2048ELi512EEEvPvPKfPKiS6_PiPfii+0x4984>
	s_waitcnt lgkmcnt(0)                                       // 000000006568: BF8CC07F
	v_cmp_lt_i32_e64 s[18:19], v9, v3                          // 00000000656C: D0C10012 00020709
	v_cmp_eq_f32_e64 s[20:21], v2, v10                         // 000000006574: D0420014 00021502
	s_and_b64 s[18:19], s[18:19], s[20:21]                     // 00000000657C: 86921412
	s_orn2_b64 s[20:21], s[18:19], exec                        // 000000006580: 8A947E12
	s_or_b64 exec, exec, s[30:31]                              // 000000006584: 87FE1E7E
	s_xor_b64 s[0:1], s[0:1], s[20:21]                         // 000000006588: 88801400
	s_xor_b64 s[0:1], vcc, s[0:1]                              // 00000000658C: 8880006A
	v_cndmask_b32_e64 v8, v2, v10, s[0:1]                      // 000000006590: D1000008 00021502
	s_waitcnt lgkmcnt(0)                                       // 000000006598: BF8CC07F
	v_cndmask_b32_e64 v2, v3, v9, s[0:1]                       // 00000000659C: D1000002 00021303
	ds_bpermute_b32 v3, v7, v8                                 // 0000000065A4: D87E0000 03000807
	ds_bpermute_b32 v7, v7, v2                                 // 0000000065AC: D87E0000 07000207
	s_waitcnt lgkmcnt(1)                                       // 0000000065B4: BF8CC17F
	v_cmp_ngt_f32_e64 s[0:1], v8, v3                           // 0000000065B8: D04B0000 00020708
	s_and_saveexec_b64 s[20:21], s[0:1]                        // 0000000065C0: BE942000
	s_cbranch_execz 7                                          // 0000000065C4: BF880007 <_ZN5aiter11PrefillTopKL10topKPerRowILi1024ELi2048ELi2048ELi512EEEvPvPKfPKiS6_PiPfii+0x49e4>
	s_waitcnt lgkmcnt(0)                                       // 0000000065C8: BF8CC07F
	v_cmp_lt_i32_e64 s[0:1], v7, v2                            // 0000000065CC: D0C10000 00020507
	v_cmp_eq_f32_e64 s[18:19], v8, v3                          // 0000000065D4: D0420012 00020708
	s_and_b64 s[0:1], s[0:1], s[18:19]                         // 0000000065DC: 86801200
	s_orn2_b64 s[22:23], s[0:1], exec                          // 0000000065E0: 8A967E00
	s_or_b64 exec, exec, s[20:21]                              // 0000000065E4: 87FE147E
	s_xor_b64 s[0:1], s[16:17], s[22:23]                       // 0000000065E8: 88801610
	s_xor_b64 s[0:1], vcc, s[0:1]                              // 0000000065EC: 8880006A
	v_cndmask_b32_e64 v3, v8, v3, s[0:1]                       // 0000000065F0: D1000003 00020708
	ds_bpermute_b32 v8, v5, v3                                 // 0000000065F8: D87E0000 08000305
	s_waitcnt lgkmcnt(1)                                       // 000000006600: BF8CC17F
	v_cndmask_b32_e64 v2, v2, v7, s[0:1]                       // 000000006604: D1000002 00020F02
	ds_bpermute_b32 v5, v5, v2                                 // 00000000660C: D87E0000 05000205
	s_mov_b64 s[18:19], -1                                     // 000000006614: BE9201C1
	s_waitcnt lgkmcnt(1)                                       // 000000006618: BF8CC17F
	v_cmp_ngt_f32_e64 s[0:1], v3, v8                           // 00000000661C: D04B0000 00021103
	s_mov_b64 s[16:17], -1                                     // 000000006624: BE9001C1
	s_and_saveexec_b64 s[20:21], s[0:1]                        // 000000006628: BE942000
	s_cbranch_execz 7                                          // 00000000662C: BF880007 <_ZN5aiter11PrefillTopKL10topKPerRowILi1024ELi2048ELi2048ELi512EEEvPvPKfPKiS6_PiPfii+0x4a4c>
	s_waitcnt lgkmcnt(0)                                       // 000000006630: BF8CC07F
	v_cmp_lt_i32_e64 s[0:1], v5, v2                            // 000000006634: D0C10000 00020505
	v_cmp_eq_f32_e64 s[16:17], v3, v8                          // 00000000663C: D0420010 00021103
	s_and_b64 s[0:1], s[0:1], s[16:17]                         // 000000006644: 86801000
	s_orn2_b64 s[16:17], s[0:1], exec                          // 000000006648: 8A907E00
	s_or_b64 exec, exec, s[20:21]                              // 00000000664C: 87FE147E
	s_xor_b64 s[0:1], s[14:15], s[16:17]                       // 000000006650: 8880100E
	s_xor_b64 s[0:1], vcc, s[0:1]                              // 000000006654: 8880006A
	v_cndmask_b32_e64 v3, v3, v8, s[0:1]                       // 000000006658: D1000003 00021103
	s_waitcnt lgkmcnt(0)                                       // 000000006660: BF8CC07F
	v_cndmask_b32_e64 v2, v2, v5, s[0:1]                       // 000000006664: D1000002 00020B02
	ds_bpermute_b32 v7, v1, v3                                 // 00000000666C: D87E0000 07000301
	ds_bpermute_b32 v5, v1, v2                                 // 000000006674: D87E0000 05000201
	s_waitcnt lgkmcnt(1)                                       // 00000000667C: BF8CC17F
	v_cmp_ngt_f32_e64 s[0:1], v3, v7                           // 000000006680: D04B0000 00020F03
	s_and_saveexec_b64 s[16:17], s[0:1]                        // 000000006688: BE902000
	s_cbranch_execz 7                                          // 00000000668C: BF880007 <_ZN5aiter11PrefillTopKL10topKPerRowILi1024ELi2048ELi2048ELi512EEEvPvPKfPKiS6_PiPfii+0x4aac>
	s_waitcnt lgkmcnt(0)                                       // 000000006690: BF8CC07F
	v_cmp_lt_i32_e64 s[0:1], v5, v2                            // 000000006694: D0C10000 00020505
	v_cmp_eq_f32_e64 s[14:15], v3, v7                          // 00000000669C: D042000E 00020F03
	s_and_b64 s[0:1], s[0:1], s[14:15]                         // 0000000066A4: 86800E00
	s_orn2_b64 s[18:19], s[0:1], exec                          // 0000000066A8: 8A927E00
	s_or_b64 exec, exec, s[16:17]                              // 0000000066AC: 87FE107E
	s_xor_b64 s[0:1], s[10:11], s[18:19]                       // 0000000066B0: 8880120A
	s_xor_b64 s[0:1], vcc, s[0:1]                              // 0000000066B4: 8880006A
	v_cndmask_b32_e64 v1, v3, v7, s[0:1]                       // 0000000066B8: D1000001 00020F03
	ds_bpermute_b32 v3, v0, v1                                 // 0000000066C0: D87E0000 03000100
	s_waitcnt lgkmcnt(1)                                       // 0000000066C8: BF8CC17F
	v_cndmask_b32_e64 v2, v2, v5, s[0:1]                       // 0000000066CC: D1000002 00020B02
	ds_bpermute_b32 v0, v0, v2                                 // 0000000066D4: D87E0000 00000200
	s_waitcnt lgkmcnt(1)                                       // 0000000066DC: BF8CC17F
	v_cmp_ngt_f32_e64 s[0:1], v1, v3                           // 0000000066E0: D04B0000 00020701
	s_mov_b64 s[10:11], -1                                     // 0000000066E8: BE8A01C1
	s_and_saveexec_b64 s[14:15], s[0:1]                        // 0000000066EC: BE8E2000
	s_cbranch_execz 7                                          // 0000000066F0: BF880007 <_ZN5aiter11PrefillTopKL10topKPerRowILi1024ELi2048ELi2048ELi512EEEvPvPKfPKiS6_PiPfii+0x4b10>
	s_waitcnt lgkmcnt(0)                                       // 0000000066F4: BF8CC07F
	v_cmp_lt_i32_e64 s[0:1], v0, v2                            // 0000000066F8: D0C10000 00020500
	v_cmp_eq_f32_e64 s[10:11], v1, v3                          // 000000006700: D042000A 00020701
	s_and_b64 s[0:1], s[0:1], s[10:11]                         // 000000006708: 86800A00
	s_orn2_b64 s[10:11], s[0:1], exec                          // 00000000670C: 8A8A7E00
	s_or_b64 exec, exec, s[14:15]                              // 000000006710: 87FE0E7E
	v_or_b32_e32 v5, 0x2000, v18                               // 000000006714: 280A24FF 00002000
	s_xor_b64 s[0:1], s[4:5], s[10:11]                         // 00000000671C: 88800A04
	s_xor_b64 vcc, vcc, s[0:1]                                 // 000000006720: 88EA006A
	s_waitcnt lgkmcnt(0)                                       // 000000006724: BF8CC07F
	v_cndmask_b32_e32 v0, v2, v0, vcc                          // 000000006728: 00000102
	v_cndmask_b32_e32 v1, v1, v3, vcc                          // 00000000672C: 00020701
	ds_write2st64_b32 v18, v0, v1 offset0:32 offset1:40        // 000000006730: D81E2820 00010012
	s_waitcnt lgkmcnt(0)                                       // 000000006738: BF8CC07F
	s_barrier                                                  // 00000000673C: BF8A0000
	v_lshrrev_b32_e32 v14, 7, v6                               // 000000006740: 201C0C87
	v_xor_b32_e32 v0, 64, v6                                   // 000000006744: 2A000CC0
	v_cmp_gt_u32_e32 vcc, v0, v6                               // 000000006748: 7D980D00
	v_lshlrev_b32_e32 v7, 2, v0                                // 00000000674C: 240E0082
	s_and_saveexec_b64 s[10:11], vcc                           // 000000006750: BE8A206A
	s_cbranch_execz 35                                         // 000000006754: BF880023 <_ZN5aiter11PrefillTopKL10topKPerRowILi1024ELi2048ELi2048ELi512EEEvPvPKfPKiS6_PiPfii+0x4be4>
	ds_read2st64_b32 v[0:1], v5 offset1:8                      // 000000006758: D8700800 00000005
	ds_read2st64_b32 v[2:3], v7 offset0:32 offset1:40          // 000000006760: D8702820 02000007
	v_or_b32_e32 v8, 0x2000, v7                                // 000000006768: 28100EFF 00002000
	s_waitcnt lgkmcnt(0)                                       // 000000006770: BF8CC07F
	v_cmp_ngt_f32_e64 s[0:1], v1, v3                           // 000000006774: D04B0000 00020701
	s_mov_b64 s[4:5], -1                                       // 00000000677C: BE8401C1
	s_and_saveexec_b64 s[14:15], s[0:1]                        // 000000006780: BE8E2000
	v_cmp_eq_f32_e64 s[0:1], v1, v3                            // 000000006784: D0420000 00020701
	v_cmp_gt_i32_e64 s[4:5], v0, v2                            // 00000000678C: D0C40004 00020500
	s_and_b64 s[0:1], s[0:1], s[4:5]                           // 000000006794: 86800400
	s_orn2_b64 s[4:5], s[0:1], exec                            // 000000006798: 8A847E00
	s_or_b64 exec, exec, s[14:15]                              // 00000000679C: 87FE0E7E
	v_cndmask_b32_e64 v9, 0, 1, s[4:5]                         // 0000000067A0: D1000009 00110280
	v_cmp_eq_u32_e64 s[0:1], v14, v9                           // 0000000067A8: D0CA0000 0002130E
	s_nop 1                                                    // 0000000067B0: BF800001
	v_cndmask_b32_e64 v9, v1, v3, s[0:1]                       // 0000000067B4: D1000009 00020701
	v_cndmask_b32_e64 v1, v3, v1, s[0:1]                       // 0000000067BC: D1000001 00020303
	v_cndmask_b32_e64 v3, v0, v2, s[0:1]                       // 0000000067C4: D1000003 00020500
	ds_write2st64_b32 v5, v3, v9 offset1:8                     // 0000000067CC: D81E0800 00090305
	v_cndmask_b32_e64 v0, v2, v0, s[0:1]                       // 0000000067D4: D1000000 00020102
	ds_write2st64_b32 v8, v0, v1 offset1:8                     // 0000000067DC: D81E0800 00010008
	s_or_b64 exec, exec, s[10:11]                              // 0000000067E4: 87FE0A7E
	s_waitcnt lgkmcnt(0)                                       // 0000000067E8: BF8CC07F
	s_barrier                                                  // 0000000067EC: BF8A0000
	v_xor_b32_e32 v0, 32, v6                                   // 0000000067F0: 2A000CA0
	v_cmp_gt_u32_e64 s[4:5], v0, v6                            // 0000000067F4: D0CC0004 00020D00
	v_lshlrev_b32_e32 v8, 2, v0                                // 0000000067FC: 24100082
	s_and_saveexec_b64 s[14:15], s[4:5]                        // 000000006800: BE8E2004
	s_cbranch_execz 35                                         // 000000006804: BF880023 <_ZN5aiter11PrefillTopKL10topKPerRowILi1024ELi2048ELi2048ELi512EEEvPvPKfPKiS6_PiPfii+0x4c94>
	ds_read2st64_b32 v[0:1], v5 offset1:8                      // 000000006808: D8700800 00000005
	ds_read2st64_b32 v[2:3], v8 offset0:32 offset1:40          // 000000006810: D8702820 02000008
	v_or_b32_e32 v9, 0x2000, v8                                // 000000006818: 281210FF 00002000
	s_waitcnt lgkmcnt(0)                                       // 000000006820: BF8CC07F
	v_cmp_ngt_f32_e64 s[0:1], v1, v3                           // 000000006824: D04B0000 00020701
	s_mov_b64 s[10:11], -1                                     // 00000000682C: BE8A01C1
	s_and_saveexec_b64 s[16:17], s[0:1]                        // 000000006830: BE902000
	v_cmp_eq_f32_e64 s[0:1], v1, v3                            // 000000006834: D0420000 00020701
	v_cmp_gt_i32_e64 s[10:11], v0, v2                          // 00000000683C: D0C4000A 00020500
	s_and_b64 s[0:1], s[0:1], s[10:11]                         // 000000006844: 86800A00
	s_orn2_b64 s[10:11], s[0:1], exec                          // 000000006848: 8A8A7E00
	s_or_b64 exec, exec, s[16:17]                              // 00000000684C: 87FE107E
	v_cndmask_b32_e64 v10, 0, 1, s[10:11]                      // 000000006850: D100000A 00290280
	v_cmp_eq_u32_e64 s[0:1], v14, v10                          // 000000006858: D0CA0000 0002150E
	s_nop 1                                                    // 000000006860: BF800001
	v_cndmask_b32_e64 v10, v1, v3, s[0:1]                      // 000000006864: D100000A 00020701
	v_cndmask_b32_e64 v1, v3, v1, s[0:1]                       // 00000000686C: D1000001 00020303
	v_cndmask_b32_e64 v3, v0, v2, s[0:1]                       // 000000006874: D1000003 00020500
	ds_write2st64_b32 v5, v3, v10 offset1:8                    // 00000000687C: D81E0800 000A0305
	v_cndmask_b32_e64 v0, v2, v0, s[0:1]                       // 000000006884: D1000000 00020102
	ds_write2st64_b32 v9, v0, v1 offset1:8                     // 00000000688C: D81E0800 00010009
	s_or_b64 exec, exec, s[14:15]                              // 000000006894: 87FE0E7E
	s_waitcnt lgkmcnt(0)                                       // 000000006898: BF8CC07F
	s_barrier                                                  // 00000000689C: BF8A0000
	v_xor_b32_e32 v0, 16, v6                                   // 0000000068A0: 2A000C90
	v_cmp_gt_u32_e64 s[10:11], v0, v6                          // 0000000068A4: D0CC000A 00020D00
	v_lshlrev_b32_e32 v9, 2, v0                                // 0000000068AC: 24120082
	s_and_saveexec_b64 s[16:17], s[10:11]                      // 0000000068B0: BE90200A
	s_cbranch_execz 35                                         // 0000000068B4: BF880023 <_ZN5aiter11PrefillTopKL10topKPerRowILi1024ELi2048ELi2048ELi512EEEvPvPKfPKiS6_PiPfii+0x4d44>
	ds_read2st64_b32 v[0:1], v5 offset1:8                      // 0000000068B8: D8700800 00000005
	ds_read2st64_b32 v[2:3], v9 offset0:32 offset1:40          // 0000000068C0: D8702820 02000009
	v_or_b32_e32 v10, 0x2000, v9                               // 0000000068C8: 281412FF 00002000
	s_waitcnt lgkmcnt(0)                                       // 0000000068D0: BF8CC07F
	v_cmp_ngt_f32_e64 s[0:1], v1, v3                           // 0000000068D4: D04B0000 00020701
	s_mov_b64 s[14:15], -1                                     // 0000000068DC: BE8E01C1
	s_and_saveexec_b64 s[18:19], s[0:1]                        // 0000000068E0: BE922000
	v_cmp_eq_f32_e64 s[0:1], v1, v3                            // 0000000068E4: D0420000 00020701
	v_cmp_gt_i32_e64 s[14:15], v0, v2                          // 0000000068EC: D0C4000E 00020500
	s_and_b64 s[0:1], s[0:1], s[14:15]                         // 0000000068F4: 86800E00
	s_orn2_b64 s[14:15], s[0:1], exec                          // 0000000068F8: 8A8E7E00
	s_or_b64 exec, exec, s[18:19]                              // 0000000068FC: 87FE127E
	v_cndmask_b32_e64 v11, 0, 1, s[14:15]                      // 000000006900: D100000B 00390280
	v_cmp_eq_u32_e64 s[0:1], v14, v11                          // 000000006908: D0CA0000 0002170E
	s_nop 1                                                    // 000000006910: BF800001
	v_cndmask_b32_e64 v11, v1, v3, s[0:1]                      // 000000006914: D100000B 00020701
	v_cndmask_b32_e64 v1, v3, v1, s[0:1]                       // 00000000691C: D1000001 00020303
	v_cndmask_b32_e64 v3, v0, v2, s[0:1]                       // 000000006924: D1000003 00020500
	ds_write2st64_b32 v5, v3, v11 offset1:8                    // 00000000692C: D81E0800 000B0305
	v_cndmask_b32_e64 v0, v2, v0, s[0:1]                       // 000000006934: D1000000 00020102
	ds_write2st64_b32 v10, v0, v1 offset1:8                    // 00000000693C: D81E0800 0001000A
	s_or_b64 exec, exec, s[16:17]                              // 000000006944: 87FE107E
	s_waitcnt lgkmcnt(0)                                       // 000000006948: BF8CC07F
	s_barrier                                                  // 00000000694C: BF8A0000
	v_xor_b32_e32 v0, 8, v6                                    // 000000006950: 2A000C88
	v_cmp_gt_u32_e64 s[14:15], v0, v6                          // 000000006954: D0CC000E 00020D00
	v_lshlrev_b32_e32 v10, 2, v0                               // 00000000695C: 24140082
	s_and_saveexec_b64 s[18:19], s[14:15]                      // 000000006960: BE92200E
	s_cbranch_execz 35                                         // 000000006964: BF880023 <_ZN5aiter11PrefillTopKL10topKPerRowILi1024ELi2048ELi2048ELi512EEEvPvPKfPKiS6_PiPfii+0x4df4>
	ds_read2st64_b32 v[0:1], v5 offset1:8                      // 000000006968: D8700800 00000005
	ds_read2st64_b32 v[2:3], v10 offset0:32 offset1:40         // 000000006970: D8702820 0200000A
	v_or_b32_e32 v11, 0x2000, v10                              // 000000006978: 281614FF 00002000
	s_waitcnt lgkmcnt(0)                                       // 000000006980: BF8CC07F
	v_cmp_ngt_f32_e64 s[0:1], v1, v3                           // 000000006984: D04B0000 00020701
	s_mov_b64 s[16:17], -1                                     // 00000000698C: BE9001C1
	s_and_saveexec_b64 s[20:21], s[0:1]                        // 000000006990: BE942000
	v_cmp_eq_f32_e64 s[0:1], v1, v3                            // 000000006994: D0420000 00020701
	v_cmp_gt_i32_e64 s[16:17], v0, v2                          // 00000000699C: D0C40010 00020500
	s_and_b64 s[0:1], s[0:1], s[16:17]                         // 0000000069A4: 86801000
	s_orn2_b64 s[16:17], s[0:1], exec                          // 0000000069A8: 8A907E00
	s_or_b64 exec, exec, s[20:21]                              // 0000000069AC: 87FE147E
	v_cndmask_b32_e64 v12, 0, 1, s[16:17]                      // 0000000069B0: D100000C 00410280
	v_cmp_eq_u32_e64 s[0:1], v14, v12                          // 0000000069B8: D0CA0000 0002190E
	s_nop 1                                                    // 0000000069C0: BF800001
	v_cndmask_b32_e64 v12, v1, v3, s[0:1]                      // 0000000069C4: D100000C 00020701
	v_cndmask_b32_e64 v1, v3, v1, s[0:1]                       // 0000000069CC: D1000001 00020303
	v_cndmask_b32_e64 v3, v0, v2, s[0:1]                       // 0000000069D4: D1000003 00020500
	ds_write2st64_b32 v5, v3, v12 offset1:8                    // 0000000069DC: D81E0800 000C0305
	v_cndmask_b32_e64 v0, v2, v0, s[0:1]                       // 0000000069E4: D1000000 00020102
	ds_write2st64_b32 v11, v0, v1 offset1:8                    // 0000000069EC: D81E0800 0001000B
	s_or_b64 exec, exec, s[18:19]                              // 0000000069F4: 87FE127E
	s_waitcnt lgkmcnt(0)                                       // 0000000069F8: BF8CC07F
	s_barrier                                                  // 0000000069FC: BF8A0000
	v_xor_b32_e32 v0, 4, v6                                    // 000000006A00: 2A000C84
	v_cmp_gt_u32_e64 s[16:17], v0, v6                          // 000000006A04: D0CC0010 00020D00
	v_lshlrev_b32_e32 v11, 2, v0                               // 000000006A0C: 24160082
	s_and_saveexec_b64 s[20:21], s[16:17]                      // 000000006A10: BE942010
	s_cbranch_execz 35                                         // 000000006A14: BF880023 <_ZN5aiter11PrefillTopKL10topKPerRowILi1024ELi2048ELi2048ELi512EEEvPvPKfPKiS6_PiPfii+0x4ea4>
	ds_read2st64_b32 v[0:1], v5 offset1:8                      // 000000006A18: D8700800 00000005
	ds_read2st64_b32 v[2:3], v11 offset0:32 offset1:40         // 000000006A20: D8702820 0200000B
	v_or_b32_e32 v12, 0x2000, v11                              // 000000006A28: 281816FF 00002000
	s_waitcnt lgkmcnt(0)                                       // 000000006A30: BF8CC07F
	v_cmp_ngt_f32_e64 s[0:1], v1, v3                           // 000000006A34: D04B0000 00020701
	s_mov_b64 s[18:19], -1                                     // 000000006A3C: BE9201C1
	s_and_saveexec_b64 s[22:23], s[0:1]                        // 000000006A40: BE962000
	v_cmp_eq_f32_e64 s[0:1], v1, v3                            // 000000006A44: D0420000 00020701
	v_cmp_gt_i32_e64 s[18:19], v0, v2                          // 000000006A4C: D0C40012 00020500
	s_and_b64 s[0:1], s[0:1], s[18:19]                         // 000000006A54: 86801200
	s_orn2_b64 s[18:19], s[0:1], exec                          // 000000006A58: 8A927E00
	s_or_b64 exec, exec, s[22:23]                              // 000000006A5C: 87FE167E
	v_cndmask_b32_e64 v13, 0, 1, s[18:19]                      // 000000006A60: D100000D 00490280
	v_cmp_eq_u32_e64 s[0:1], v14, v13                          // 000000006A68: D0CA0000 00021B0E
	s_nop 1                                                    // 000000006A70: BF800001
	v_cndmask_b32_e64 v13, v1, v3, s[0:1]                      // 000000006A74: D100000D 00020701
	v_cndmask_b32_e64 v1, v3, v1, s[0:1]                       // 000000006A7C: D1000001 00020303
	v_cndmask_b32_e64 v3, v0, v2, s[0:1]                       // 000000006A84: D1000003 00020500
	ds_write2st64_b32 v5, v3, v13 offset1:8                    // 000000006A8C: D81E0800 000D0305
	v_cndmask_b32_e64 v0, v2, v0, s[0:1]                       // 000000006A94: D1000000 00020102
	ds_write2st64_b32 v12, v0, v1 offset1:8                    // 000000006A9C: D81E0800 0001000C
	s_or_b64 exec, exec, s[20:21]                              // 000000006AA4: 87FE147E
	s_waitcnt lgkmcnt(0)                                       // 000000006AA8: BF8CC07F
	s_barrier                                                  // 000000006AAC: BF8A0000
	v_xor_b32_e32 v0, 2, v6                                    // 000000006AB0: 2A000C82
	v_cmp_gt_u32_e64 s[0:1], v0, v6                            // 000000006AB4: D0CC0000 00020D00
	v_lshlrev_b32_e32 v12, 2, v0                               // 000000006ABC: 24180082
	s_and_saveexec_b64 s[22:23], s[0:1]                        // 000000006AC0: BE962000
	s_cbranch_execz 35                                         // 000000006AC4: BF880023 <_ZN5aiter11PrefillTopKL10topKPerRowILi1024ELi2048ELi2048ELi512EEEvPvPKfPKiS6_PiPfii+0x4f54>
	ds_read2st64_b32 v[0:1], v5 offset1:8                      // 000000006AC8: D8700800 00000005
	ds_read2st64_b32 v[2:3], v12 offset0:32 offset1:40         // 000000006AD0: D8702820 0200000C
	v_or_b32_e32 v13, 0x2000, v12                              // 000000006AD8: 281A18FF 00002000
	s_waitcnt lgkmcnt(0)                                       // 000000006AE0: BF8CC07F
	v_cmp_ngt_f32_e64 s[18:19], v1, v3                         // 000000006AE4: D04B0012 00020701
	s_mov_b64 s[20:21], -1                                     // 000000006AEC: BE9401C1
	s_and_saveexec_b64 s[30:31], s[18:19]                      // 000000006AF0: BE9E2012
	v_cmp_eq_f32_e64 s[18:19], v1, v3                          // 000000006AF4: D0420012 00020701
	v_cmp_gt_i32_e64 s[20:21], v0, v2                          // 000000006AFC: D0C40014 00020500
	s_and_b64 s[18:19], s[18:19], s[20:21]                     // 000000006B04: 86921412
	s_orn2_b64 s[20:21], s[18:19], exec                        // 000000006B08: 8A947E12
	s_or_b64 exec, exec, s[30:31]                              // 000000006B0C: 87FE1E7E
	v_cndmask_b32_e64 v15, 0, 1, s[20:21]                      // 000000006B10: D100000F 00510280
	v_cmp_eq_u32_e64 s[18:19], v14, v15                        // 000000006B18: D0CA0012 00021F0E
	s_nop 1                                                    // 000000006B20: BF800001
	v_cndmask_b32_e64 v15, v1, v3, s[18:19]                    // 000000006B24: D100000F 004A0701
	v_cndmask_b32_e64 v1, v3, v1, s[18:19]                     // 000000006B2C: D1000001 004A0303
	v_cndmask_b32_e64 v3, v0, v2, s[18:19]                     // 000000006B34: D1000003 004A0500
	ds_write2st64_b32 v5, v3, v15 offset1:8                    // 000000006B3C: D81E0800 000F0305
	v_cndmask_b32_e64 v0, v2, v0, s[18:19]                     // 000000006B44: D1000000 004A0102
	ds_write2st64_b32 v13, v0, v1 offset1:8                    // 000000006B4C: D81E0800 0001000D
	s_or_b64 exec, exec, s[22:23]                              // 000000006B54: 87FE167E
	s_waitcnt lgkmcnt(0)                                       // 000000006B58: BF8CC07F
	s_barrier                                                  // 000000006B5C: BF8A0000
	v_xor_b32_e32 v0, 1, v6                                    // 000000006B60: 2A000C81
	v_cmp_gt_u32_e64 s[18:19], v0, v6                          // 000000006B64: D0CC0012 00020D00
	v_lshlrev_b32_e32 v13, 2, v0                               // 000000006B6C: 241A0082
	s_and_saveexec_b64 s[30:31], s[18:19]                      // 000000006B70: BE9E2012
	s_cbranch_execz 35                                         // 000000006B74: BF880023 <_ZN5aiter11PrefillTopKL10topKPerRowILi1024ELi2048ELi2048ELi512EEEvPvPKfPKiS6_PiPfii+0x5004>
	ds_read2st64_b32 v[0:1], v5 offset1:8                      // 000000006B78: D8700800 00000005
	ds_read2st64_b32 v[2:3], v13 offset0:32 offset1:40         // 000000006B80: D8702820 0200000D
	v_or_b32_e32 v15, 0x2000, v13                              // 000000006B88: 281E1AFF 00002000
	s_waitcnt lgkmcnt(0)                                       // 000000006B90: BF8CC07F
	v_cmp_ngt_f32_e64 s[20:21], v1, v3                         // 000000006B94: D04B0014 00020701
	s_mov_b64 s[22:23], -1                                     // 000000006B9C: BE9601C1
	s_and_saveexec_b64 s[42:43], s[20:21]                      // 000000006BA0: BEAA2014
	v_cmp_eq_f32_e64 s[20:21], v1, v3                          // 000000006BA4: D0420014 00020701
	v_cmp_gt_i32_e64 s[22:23], v0, v2                          // 000000006BAC: D0C40016 00020500
	s_and_b64 s[20:21], s[20:21], s[22:23]                     // 000000006BB4: 86941614
	s_orn2_b64 s[22:23], s[20:21], exec                        // 000000006BB8: 8A967E14
	s_or_b64 exec, exec, s[42:43]                              // 000000006BBC: 87FE2A7E
	v_cndmask_b32_e64 v16, 0, 1, s[22:23]                      // 000000006BC0: D1000010 00590280
	v_cmp_eq_u32_e64 s[20:21], v14, v16                        // 000000006BC8: D0CA0014 0002210E
	s_nop 1                                                    // 000000006BD0: BF800001
	v_cndmask_b32_e64 v14, v1, v3, s[20:21]                    // 000000006BD4: D100000E 00520701
	v_cndmask_b32_e64 v1, v3, v1, s[20:21]                     // 000000006BDC: D1000001 00520303
	v_cndmask_b32_e64 v3, v0, v2, s[20:21]                     // 000000006BE4: D1000003 00520500
	ds_write2st64_b32 v5, v3, v14 offset1:8                    // 000000006BEC: D81E0800 000E0305
	v_cndmask_b32_e64 v0, v2, v0, s[20:21]                     // 000000006BF4: D1000000 00520102
	ds_write2st64_b32 v15, v0, v1 offset1:8                    // 000000006BFC: D81E0800 0001000F
	s_or_b64 exec, exec, s[30:31]                              // 000000006C04: 87FE1E7E
	s_waitcnt lgkmcnt(0)                                       // 000000006C08: BF8CC07F
	s_barrier                                                  // 000000006C0C: BF8A0000
	v_xor_b32_e32 v2, 0x80, v6                                 // 000000006C10: 2A040CFF 00000080
	v_cmp_gt_u32_e64 s[20:21], v2, v6                          // 000000006C18: D0CC0014 00020D02
	s_and_saveexec_b64 s[22:23], s[20:21]                      // 000000006C20: BE962014
	s_xor_b64 s[30:31], exec, s[22:23]                         // 000000006C24: 889E167E
	s_cbranch_execz 31                                         // 000000006C28: BF88001F <_ZN5aiter11PrefillTopKL10topKPerRowILi1024ELi2048ELi2048ELi512EEEvPvPKfPKiS6_PiPfii+0x50a8>
	ds_read2st64_b32 v[0:1], v5 offset1:8                      // 000000006C2C: D8700800 00000005
	v_lshlrev_b32_e32 v14, 2, v2                               // 000000006C34: 241C0482
	ds_read2st64_b32 v[2:3], v14 offset0:32 offset1:40         // 000000006C38: D8702820 0200000E
	v_or_b32_e32 v14, 0x2000, v14                              // 000000006C40: 281C1CFF 00002000
	s_waitcnt lgkmcnt(0)                                       // 000000006C48: BF8CC07F
	v_cmp_ngt_f32_e64 s[20:21], v1, v3                         // 000000006C4C: D04B0014 00020701
	s_mov_b64 s[22:23], -1                                     // 000000006C54: BE9601C1
	s_and_saveexec_b64 s[42:43], s[20:21]                      // 000000006C58: BEAA2014
	v_cmp_eq_f32_e64 s[20:21], v1, v3                          // 000000006C5C: D0420014 00020701
	v_cmp_gt_i32_e64 s[22:23], v0, v2                          // 000000006C64: D0C40016 00020500
	s_and_b64 s[20:21], s[20:21], s[22:23]                     // 000000006C6C: 86941614
	s_orn2_b64 s[22:23], s[20:21], exec                        // 000000006C70: 8A967E14
	s_or_b64 exec, exec, s[42:43]                              // 000000006C74: 87FE2A7E
	v_cndmask_b32_e64 v15, v3, v1, s[22:23]                    // 000000006C78: D100000F 005A0303
	v_cndmask_b32_e64 v1, v1, v3, s[22:23]                     // 000000006C80: D1000001 005A0701
	v_cndmask_b32_e64 v3, v2, v0, s[22:23]                     // 000000006C88: D1000003 005A0102
	ds_write2st64_b32 v5, v3, v15 offset1:8                    // 000000006C90: D81E0800 000F0305
	v_cndmask_b32_e64 v0, v0, v2, s[22:23]                     // 000000006C98: D1000000 005A0500
	ds_write2st64_b32 v14, v0, v1 offset1:8                    // 000000006CA0: D81E0800 0001000E
	s_or_b64 exec, exec, s[30:31]                              // 000000006CA8: 87FE1E7E
	s_waitcnt lgkmcnt(0)                                       // 000000006CAC: BF8CC07F
	s_barrier                                                  // 000000006CB0: BF8A0000
	s_and_saveexec_b64 s[22:23], vcc                           // 000000006CB4: BE96206A
	s_cbranch_execz 28                                         // 000000006CB8: BF88001C <_ZN5aiter11PrefillTopKL10topKPerRowILi1024ELi2048ELi2048ELi512EEEvPvPKfPKiS6_PiPfii+0x512c>
	ds_read2st64_b32 v[0:1], v5 offset1:8                      // 000000006CBC: D8700800 00000005
	ds_read2st64_b32 v[2:3], v7 offset0:32 offset1:40          // 000000006CC4: D8702820 02000007
	v_or_b32_e32 v7, 0x2000, v7                                // 000000006CCC: 280E0EFF 00002000
	s_waitcnt lgkmcnt(0)                                       // 000000006CD4: BF8CC07F
	v_cmp_ngt_f32_e32 vcc, v1, v3                              // 000000006CD8: 7C960701
	s_mov_b64 s[20:21], 0                                      // 000000006CDC: BE940180
	s_and_saveexec_b64 s[30:31], vcc                           // 000000006CE0: BE9E206A
	v_cmp_neq_f32_e32 vcc, v1, v3                              // 000000006CE4: 7C9A0701
	v_cmp_le_i32_e64 s[20:21], v0, v2                          // 000000006CE8: D0C30014 00020500
	s_or_b64 s[20:21], vcc, s[20:21]                           // 000000006CF0: 8794146A
	s_and_b64 s[20:21], s[20:21], exec                         // 000000006CF4: 86947E14
	s_or_b64 exec, exec, s[30:31]                              // 000000006CF8: 87FE1E7E
	v_cndmask_b32_e64 v14, v1, v3, s[20:21]                    // 000000006CFC: D100000E 00520701
	v_cndmask_b32_e64 v1, v3, v1, s[20:21]                     // 000000006D04: D1000001 00520303
	v_cndmask_b32_e64 v3, v0, v2, s[20:21]                     // 000000006D0C: D1000003 00520500
	ds_write2st64_b32 v5, v3, v14 offset1:8                    // 000000006D14: D81E0800 000E0305
	v_cndmask_b32_e64 v0, v2, v0, s[20:21]                     // 000000006D1C: D1000000 00520102
	ds_write2st64_b32 v7, v0, v1 offset1:8                     // 000000006D24: D81E0800 00010007
	s_or_b64 exec, exec, s[22:23]                              // 000000006D2C: 87FE167E
	s_waitcnt lgkmcnt(0)                                       // 000000006D30: BF8CC07F
	s_barrier                                                  // 000000006D34: BF8A0000
	s_and_saveexec_b64 s[20:21], s[4:5]                        // 000000006D38: BE942004
	s_cbranch_execz 28                                         // 000000006D3C: BF88001C <_ZN5aiter11PrefillTopKL10topKPerRowILi1024ELi2048ELi2048ELi512EEEvPvPKfPKiS6_PiPfii+0x51b0>
	ds_read2st64_b32 v[0:1], v5 offset1:8                      // 000000006D40: D8700800 00000005
	ds_read2st64_b32 v[2:3], v8 offset0:32 offset1:40          // 000000006D48: D8702820 02000008
	v_or_b32_e32 v7, 0x2000, v8                                // 000000006D50: 280E10FF 00002000
	s_waitcnt lgkmcnt(0)                                       // 000000006D58: BF8CC07F
	v_cmp_ngt_f32_e32 vcc, v1, v3                              // 000000006D5C: 7C960701
	s_mov_b64 s[4:5], 0                                        // 000000006D60: BE840180
	s_and_saveexec_b64 s[22:23], vcc                           // 000000006D64: BE96206A
	v_cmp_neq_f32_e32 vcc, v1, v3                              // 000000006D68: 7C9A0701
	v_cmp_le_i32_e64 s[4:5], v0, v2                            // 000000006D6C: D0C30004 00020500
	s_or_b64 s[4:5], vcc, s[4:5]                               // 000000006D74: 8784046A
	s_and_b64 s[4:5], s[4:5], exec                             // 000000006D78: 86847E04
	s_or_b64 exec, exec, s[22:23]                              // 000000006D7C: 87FE167E
	v_cndmask_b32_e64 v8, v1, v3, s[4:5]                       // 000000006D80: D1000008 00120701
	v_cndmask_b32_e64 v1, v3, v1, s[4:5]                       // 000000006D88: D1000001 00120303
	v_cndmask_b32_e64 v3, v0, v2, s[4:5]                       // 000000006D90: D1000003 00120500
	ds_write2st64_b32 v5, v3, v8 offset1:8                     // 000000006D98: D81E0800 00080305
	v_cndmask_b32_e64 v0, v2, v0, s[4:5]                       // 000000006DA0: D1000000 00120102
	ds_write2st64_b32 v7, v0, v1 offset1:8                     // 000000006DA8: D81E0800 00010007
	s_or_b64 exec, exec, s[20:21]                              // 000000006DB0: 87FE147E
	s_waitcnt lgkmcnt(0)                                       // 000000006DB4: BF8CC07F
	s_barrier                                                  // 000000006DB8: BF8A0000
	s_and_saveexec_b64 s[20:21], s[10:11]                      // 000000006DBC: BE94200A
	s_cbranch_execz 28                                         // 000000006DC0: BF88001C <_ZN5aiter11PrefillTopKL10topKPerRowILi1024ELi2048ELi2048ELi512EEEvPvPKfPKiS6_PiPfii+0x5234>
	ds_read2st64_b32 v[0:1], v5 offset1:8                      // 000000006DC4: D8700800 00000005
	ds_read2st64_b32 v[2:3], v9 offset0:32 offset1:40          // 000000006DCC: D8702820 02000009
	v_or_b32_e32 v7, 0x2000, v9                                // 000000006DD4: 280E12FF 00002000
	s_waitcnt lgkmcnt(0)                                       // 000000006DDC: BF8CC07F
	v_cmp_ngt_f32_e32 vcc, v1, v3                              // 000000006DE0: 7C960701
	s_mov_b64 s[4:5], 0                                        // 000000006DE4: BE840180
	s_and_saveexec_b64 s[10:11], vcc                           // 000000006DE8: BE8A206A
	v_cmp_neq_f32_e32 vcc, v1, v3                              // 000000006DEC: 7C9A0701
	v_cmp_le_i32_e64 s[4:5], v0, v2                            // 000000006DF0: D0C30004 00020500
	s_or_b64 s[4:5], vcc, s[4:5]                               // 000000006DF8: 8784046A
	s_and_b64 s[4:5], s[4:5], exec                             // 000000006DFC: 86847E04
	s_or_b64 exec, exec, s[10:11]                              // 000000006E00: 87FE0A7E
	v_cndmask_b32_e64 v8, v1, v3, s[4:5]                       // 000000006E04: D1000008 00120701
	v_cndmask_b32_e64 v1, v3, v1, s[4:5]                       // 000000006E0C: D1000001 00120303
	v_cndmask_b32_e64 v3, v0, v2, s[4:5]                       // 000000006E14: D1000003 00120500
	ds_write2st64_b32 v5, v3, v8 offset1:8                     // 000000006E1C: D81E0800 00080305
	v_cndmask_b32_e64 v0, v2, v0, s[4:5]                       // 000000006E24: D1000000 00120102
	ds_write2st64_b32 v7, v0, v1 offset1:8                     // 000000006E2C: D81E0800 00010007
	s_or_b64 exec, exec, s[20:21]                              // 000000006E34: 87FE147E
	s_waitcnt lgkmcnt(0)                                       // 000000006E38: BF8CC07F
	s_barrier                                                  // 000000006E3C: BF8A0000
	s_and_saveexec_b64 s[10:11], s[14:15]                      // 000000006E40: BE8A200E
	s_cbranch_execz 28                                         // 000000006E44: BF88001C <_ZN5aiter11PrefillTopKL10topKPerRowILi1024ELi2048ELi2048ELi512EEEvPvPKfPKiS6_PiPfii+0x52b8>
	ds_read2st64_b32 v[0:1], v5 offset1:8                      // 000000006E48: D8700800 00000005
	ds_read2st64_b32 v[2:3], v10 offset0:32 offset1:40         // 000000006E50: D8702820 0200000A
	v_or_b32_e32 v7, 0x2000, v10                               // 000000006E58: 280E14FF 00002000
	s_waitcnt lgkmcnt(0)                                       // 000000006E60: BF8CC07F
	v_cmp_ngt_f32_e32 vcc, v1, v3                              // 000000006E64: 7C960701
	s_mov_b64 s[4:5], 0                                        // 000000006E68: BE840180
	s_and_saveexec_b64 s[14:15], vcc                           // 000000006E6C: BE8E206A
	v_cmp_neq_f32_e32 vcc, v1, v3                              // 000000006E70: 7C9A0701
	v_cmp_le_i32_e64 s[4:5], v0, v2                            // 000000006E74: D0C30004 00020500
	s_or_b64 s[4:5], vcc, s[4:5]                               // 000000006E7C: 8784046A
	s_and_b64 s[4:5], s[4:5], exec                             // 000000006E80: 86847E04
	s_or_b64 exec, exec, s[14:15]                              // 000000006E84: 87FE0E7E
	v_cndmask_b32_e64 v8, v1, v3, s[4:5]                       // 000000006E88: D1000008 00120701
	v_cndmask_b32_e64 v1, v3, v1, s[4:5]                       // 000000006E90: D1000001 00120303
	v_cndmask_b32_e64 v3, v0, v2, s[4:5]                       // 000000006E98: D1000003 00120500
	ds_write2st64_b32 v5, v3, v8 offset1:8                     // 000000006EA0: D81E0800 00080305
	v_cndmask_b32_e64 v0, v2, v0, s[4:5]                       // 000000006EA8: D1000000 00120102
	ds_write2st64_b32 v7, v0, v1 offset1:8                     // 000000006EB0: D81E0800 00010007
	s_or_b64 exec, exec, s[10:11]                              // 000000006EB8: 87FE0A7E
	s_waitcnt lgkmcnt(0)                                       // 000000006EBC: BF8CC07F
	s_barrier                                                  // 000000006EC0: BF8A0000
	s_and_saveexec_b64 s[10:11], s[16:17]                      // 000000006EC4: BE8A2010
	s_cbranch_execz 28                                         // 000000006EC8: BF88001C <_ZN5aiter11PrefillTopKL10topKPerRowILi1024ELi2048ELi2048ELi512EEEvPvPKfPKiS6_PiPfii+0x533c>
	ds_read2st64_b32 v[0:1], v5 offset1:8                      // 000000006ECC: D8700800 00000005
	ds_read2st64_b32 v[2:3], v11 offset0:32 offset1:40         // 000000006ED4: D8702820 0200000B
	v_or_b32_e32 v7, 0x2000, v11                               // 000000006EDC: 280E16FF 00002000
	s_waitcnt lgkmcnt(0)                                       // 000000006EE4: BF8CC07F
	v_cmp_ngt_f32_e32 vcc, v1, v3                              // 000000006EE8: 7C960701
	s_mov_b64 s[4:5], 0                                        // 000000006EEC: BE840180
	s_and_saveexec_b64 s[14:15], vcc                           // 000000006EF0: BE8E206A
	v_cmp_neq_f32_e32 vcc, v1, v3                              // 000000006EF4: 7C9A0701
	v_cmp_le_i32_e64 s[4:5], v0, v2                            // 000000006EF8: D0C30004 00020500
	s_or_b64 s[4:5], vcc, s[4:5]                               // 000000006F00: 8784046A
	s_and_b64 s[4:5], s[4:5], exec                             // 000000006F04: 86847E04
	s_or_b64 exec, exec, s[14:15]                              // 000000006F08: 87FE0E7E
	v_cndmask_b32_e64 v8, v1, v3, s[4:5]                       // 000000006F0C: D1000008 00120701
	v_cndmask_b32_e64 v1, v3, v1, s[4:5]                       // 000000006F14: D1000001 00120303
	v_cndmask_b32_e64 v3, v0, v2, s[4:5]                       // 000000006F1C: D1000003 00120500
	ds_write2st64_b32 v5, v3, v8 offset1:8                     // 000000006F24: D81E0800 00080305
	v_cndmask_b32_e64 v0, v2, v0, s[4:5]                       // 000000006F2C: D1000000 00120102
	ds_write2st64_b32 v7, v0, v1 offset1:8                     // 000000006F34: D81E0800 00010007
	s_or_b64 exec, exec, s[10:11]                              // 000000006F3C: 87FE0A7E
	s_waitcnt lgkmcnt(0)                                       // 000000006F40: BF8CC07F
	s_barrier                                                  // 000000006F44: BF8A0000
	s_and_saveexec_b64 s[4:5], s[0:1]                          // 000000006F48: BE842000
	s_cbranch_execz 28                                         // 000000006F4C: BF88001C <_ZN5aiter11PrefillTopKL10topKPerRowILi1024ELi2048ELi2048ELi512EEEvPvPKfPKiS6_PiPfii+0x53c0>
	ds_read2st64_b32 v[0:1], v5 offset1:8                      // 000000006F50: D8700800 00000005
	ds_read2st64_b32 v[2:3], v12 offset0:32 offset1:40         // 000000006F58: D8702820 0200000C
	v_or_b32_e32 v7, 0x2000, v12                               // 000000006F60: 280E18FF 00002000
	s_waitcnt lgkmcnt(0)                                       // 000000006F68: BF8CC07F
	v_cmp_ngt_f32_e32 vcc, v1, v3                              // 000000006F6C: 7C960701
	s_mov_b64 s[0:1], 0                                        // 000000006F70: BE800180
	s_and_saveexec_b64 s[10:11], vcc                           // 000000006F74: BE8A206A
	v_cmp_neq_f32_e32 vcc, v1, v3                              // 000000006F78: 7C9A0701
	v_cmp_le_i32_e64 s[0:1], v0, v2                            // 000000006F7C: D0C30000 00020500
	s_or_b64 s[0:1], vcc, s[0:1]                               // 000000006F84: 8780006A
	s_and_b64 s[0:1], s[0:1], exec                             // 000000006F88: 86807E00
	s_or_b64 exec, exec, s[10:11]                              // 000000006F8C: 87FE0A7E
	v_cndmask_b32_e64 v8, v1, v3, s[0:1]                       // 000000006F90: D1000008 00020701
	v_cndmask_b32_e64 v1, v3, v1, s[0:1]                       // 000000006F98: D1000001 00020303
	v_cndmask_b32_e64 v3, v0, v2, s[0:1]                       // 000000006FA0: D1000003 00020500
	ds_write2st64_b32 v5, v3, v8 offset1:8                     // 000000006FA8: D81E0800 00080305
	v_cndmask_b32_e64 v0, v2, v0, s[0:1]                       // 000000006FB0: D1000000 00020102
	ds_write2st64_b32 v7, v0, v1 offset1:8                     // 000000006FB8: D81E0800 00010007
	s_or_b64 exec, exec, s[4:5]                                // 000000006FC0: 87FE047E
	s_waitcnt lgkmcnt(0)                                       // 000000006FC4: BF8CC07F
	s_barrier                                                  // 000000006FC8: BF8A0000
	s_and_saveexec_b64 s[4:5], s[18:19]                        // 000000006FCC: BE842012
	s_cbranch_execz 28                                         // 000000006FD0: BF88001C <_ZN5aiter11PrefillTopKL10topKPerRowILi1024ELi2048ELi2048ELi512EEEvPvPKfPKiS6_PiPfii+0x5444>
	ds_read2st64_b32 v[0:1], v5 offset1:8                      // 000000006FD4: D8700800 00000005
	ds_read2st64_b32 v[2:3], v13 offset0:32 offset1:40         // 000000006FDC: D8702820 0200000D
	v_or_b32_e32 v7, 0x2000, v13                               // 000000006FE4: 280E1AFF 00002000
	s_waitcnt lgkmcnt(0)                                       // 000000006FEC: BF8CC07F
	v_cmp_ngt_f32_e32 vcc, v1, v3                              // 000000006FF0: 7C960701
	s_mov_b64 s[0:1], 0                                        // 000000006FF4: BE800180
	s_and_saveexec_b64 s[10:11], vcc                           // 000000006FF8: BE8A206A
	v_cmp_neq_f32_e32 vcc, v1, v3                              // 000000006FFC: 7C9A0701
	v_cmp_le_i32_e64 s[0:1], v0, v2                            // 000000007000: D0C30000 00020500
	s_or_b64 s[0:1], vcc, s[0:1]                               // 000000007008: 8780006A
	s_and_b64 s[0:1], s[0:1], exec                             // 00000000700C: 86807E00
	s_or_b64 exec, exec, s[10:11]                              // 000000007010: 87FE0A7E
	v_cndmask_b32_e64 v8, v1, v3, s[0:1]                       // 000000007014: D1000008 00020701
	v_cndmask_b32_e64 v1, v3, v1, s[0:1]                       // 00000000701C: D1000001 00020303
	v_cndmask_b32_e64 v3, v0, v2, s[0:1]                       // 000000007024: D1000003 00020500
	ds_write2st64_b32 v5, v3, v8 offset1:8                     // 00000000702C: D81E0800 00080305
	v_cndmask_b32_e64 v0, v2, v0, s[0:1]                       // 000000007034: D1000000 00020102
	ds_write2st64_b32 v7, v0, v1 offset1:8                     // 00000000703C: D81E0800 00010007
	s_or_b64 exec, exec, s[4:5]                                // 000000007044: 87FE047E
	s_waitcnt lgkmcnt(0)                                       // 000000007048: BF8CC07F
	s_barrier                                                  // 00000000704C: BF8A0000
	s_or_b64 s[26:27], s[26:27], exec                          // 000000007050: 879A7E1A
	s_or_b64 exec, exec, s[28:29]                              // 000000007054: 87FE1C7E
	s_mov_b64 s[0:1], 0                                        // 000000007058: BE800180
	s_and_b64 vcc, exec, s[0:1]                                // 00000000705C: 86EA007E
	s_cbranch_vccz 871                                         // 000000007060: BF860367 <_ZN5aiter11PrefillTopKL10topKPerRowILi1024ELi2048ELi2048ELi512EEEvPvPKfPKiS6_PiPfii+0x6200>
	s_movk_i32 s0, 0x80                                        // 000000007064: B0000080
	v_cmp_gt_u32_e32 vcc, s0, v6                               // 000000007068: 7D980C00
	s_and_saveexec_b64 s[28:29], vcc                           // 00000000706C: BE9C206A
	s_cbranch_execz 866                                        // 000000007070: BF880362 <_ZN5aiter11PrefillTopKL10topKPerRowILi1024ELi2048ELi2048ELi512EEEvPvPKfPKiS6_PiPfii+0x61fc>
	v_cmp_gt_i32_e32 vcc, s57, v6                              // 000000007074: 7D880C39
	v_mov_b32_e32 v1, 0xff7fffff                               // 000000007078: 7E0202FF FF7FFFFF
	s_and_saveexec_b64 s[0:1], vcc                             // 000000007080: BE80206A
	s_cbranch_execz 2                                          // 000000007084: BF880002 <_ZN5aiter11PrefillTopKL10topKPerRowILi1024ELi2048ELi2048ELi512EEEvPvPKfPKiS6_PiPfii+0x5490>
	ds_read_b32 v1, v18 offset:10240                           // 000000007088: D86C2800 01000012
	s_or_b64 exec, exec, s[0:1]                                // 000000007090: 87FE007E
	v_mov_b32_e32 v5, -1                                       // 000000007094: 7E0A02C1
	s_and_saveexec_b64 s[0:1], vcc                             // 000000007098: BE80206A
	s_cbranch_execz 2                                          // 00000000709C: BF880002 <_ZN5aiter11PrefillTopKL10topKPerRowILi1024ELi2048ELi2048ELi512EEEvPvPKfPKiS6_PiPfii+0x54a8>
	ds_read_b32 v5, v18 offset:8192                            // 0000000070A0: D86C2000 05000012
	s_or_b64 exec, exec, s[0:1]                                // 0000000070A8: 87FE007E
	v_mbcnt_lo_u32_b32 v0, -1, 0                               // 0000000070AC: D28C0000 000100C1
	v_mbcnt_hi_u32_b32 v2, -1, v0                              // 0000000070B4: D28D0002 000200C1
	v_and_b32_e32 v0, 64, v2                                   // 0000000070BC: 260004C0
	v_add_u32_e32 v3, 64, v0                                   // 0000000070C0: 680600C0
	v_xor_b32_e32 v0, 1, v2                                    // 0000000070C4: 2A000481
	v_cmp_lt_i32_e32 vcc, v0, v3                               // 0000000070C8: 7D820700
	s_nop 1                                                    // 0000000070CC: BF800001
	v_cndmask_b32_e32 v0, v2, v0, vcc                          // 0000000070D0: 00000102
	v_lshlrev_b32_e32 v0, 2, v0                                // 0000000070D4: 24000082
	s_waitcnt lgkmcnt(0)                                       // 0000000070D8: BF8CC07F
	ds_bpermute_b32 v7, v0, v1                                 // 0000000070DC: D87E0000 07000100
	ds_bpermute_b32 v8, v0, v5                                 // 0000000070E4: D87E0000 08000500
	s_mov_b64 s[16:17], -1                                     // 0000000070EC: BE9001C1
	s_waitcnt lgkmcnt(1)                                       // 0000000070F0: BF8CC17F
	v_cmp_ngt_f32_e32 vcc, v1, v7                              // 0000000070F4: 7C960F01
	s_mov_b64 s[0:1], -1                                       // 0000000070F8: BE8001C1
	s_and_saveexec_b64 s[4:5], vcc                             // 0000000070FC: BE84206A
	s_cbranch_execz 6                                          // 000000007100: BF880006 <_ZN5aiter11PrefillTopKL10topKPerRowILi1024ELi2048ELi2048ELi512EEEvPvPKfPKiS6_PiPfii+0x551c>
	s_waitcnt lgkmcnt(0)                                       // 000000007104: BF8CC07F
	v_cmp_lt_i32_e32 vcc, v8, v5                               // 000000007108: 7D820B08
	v_cmp_eq_f32_e64 s[0:1], v1, v7                            // 00000000710C: D0420000 00020F01
	s_and_b64 s[0:1], vcc, s[0:1]                              // 000000007114: 8680006A
	s_orn2_b64 s[0:1], s[0:1], exec                            // 000000007118: 8A807E00
	s_or_b64 exec, exec, s[4:5]                                // 00000000711C: 87FE047E
	v_cmp_lt_u32_e32 vcc, 63, v6                               // 000000007120: 7D920CBF
	v_and_b32_e32 v9, 2, v6                                    // 000000007124: 26120C82
	v_cmp_ne_u32_e64 s[10:11], 0, v9                           // 000000007128: D0CD000A 00021280
	v_and_b32_e32 v9, 1, v6                                    // 000000007130: 26120C81
	v_cmp_eq_u32_e64 s[4:5], 1, v9                             // 000000007134: D0CA0004 00021281
	s_xor_b64 s[0:1], s[10:11], s[0:1]                         // 00000000713C: 8880000A
	s_xor_b64 s[0:1], s[4:5], s[0:1]                           // 000000007140: 88800004
	s_xor_b64 s[0:1], vcc, s[0:1]                              // 000000007144: 8880006A
	v_cndmask_b32_e64 v7, v1, v7, s[0:1]                       // 000000007148: D1000007 00020F01
	s_waitcnt lgkmcnt(0)                                       // 000000007150: BF8CC07F
	v_cndmask_b32_e64 v5, v5, v8, s[0:1]                       // 000000007154: D1000005 00021105
	v_xor_b32_e32 v1, 2, v2                                    // 00000000715C: 2A020482
	v_cmp_lt_i32_e64 s[0:1], v1, v3                            // 000000007160: D0C10000 00020701
	s_nop 1                                                    // 000000007168: BF800001
	v_cndmask_b32_e64 v1, v2, v1, s[0:1]                       // 00000000716C: D1000001 00020302
	v_lshlrev_b32_e32 v1, 2, v1                                // 000000007174: 24020282
	ds_bpermute_b32 v9, v1, v7                                 // 000000007178: D87E0000 09000701
	ds_bpermute_b32 v8, v1, v5                                 // 000000007180: D87E0000 08000501
	s_waitcnt lgkmcnt(1)                                       // 000000007188: BF8CC17F
	v_cmp_ngt_f32_e64 s[0:1], v7, v9                           // 00000000718C: D04B0000 00021307
	s_and_saveexec_b64 s[14:15], s[0:1]                        // 000000007194: BE8E2000
	s_xor_b64 s[18:19], exec, s[14:15]                         // 000000007198: 88920E7E
	s_cbranch_execz 7                                          // 00000000719C: BF880007 <_ZN5aiter11PrefillTopKL10topKPerRowILi1024ELi2048ELi2048ELi512EEEvPvPKfPKiS6_PiPfii+0x55bc>
	s_waitcnt lgkmcnt(0)                                       // 0000000071A0: BF8CC07F
	v_cmp_lt_i32_e64 s[0:1], v8, v5                            // 0000000071A4: D0C10000 00020B08
	v_cmp_eq_f32_e64 s[14:15], v7, v9                          // 0000000071AC: D042000E 00021307
	s_and_b64 s[0:1], s[0:1], s[14:15]                         // 0000000071B4: 86800E00
	s_orn2_b64 s[16:17], s[0:1], exec                          // 0000000071B8: 8A907E00
	s_or_b64 exec, exec, s[18:19]                              // 0000000071BC: 87FE127E
	v_and_b32_e32 v10, 4, v6                                   // 0000000071C0: 26140C84
	v_cmp_ne_u32_e64 s[14:15], 0, v10                          // 0000000071C4: D0CD000E 00021480
	s_xor_b64 s[20:21], vcc, s[14:15]                          // 0000000071CC: 88940E6A
	s_xor_b64 s[0:1], s[10:11], s[16:17]                       // 0000000071D0: 8880100A
	s_xor_b64 s[0:1], s[20:21], s[0:1]                         // 0000000071D4: 88800014
	v_cndmask_b32_e64 v7, v7, v9, s[0:1]                       // 0000000071D8: D1000007 00021307
	ds_bpermute_b32 v9, v0, v7                                 // 0000000071E0: D87E0000 09000700
	s_waitcnt lgkmcnt(1)                                       // 0000000071E8: BF8CC17F
	v_cndmask_b32_e64 v5, v5, v8, s[0:1]                       // 0000000071EC: D1000005 00021105
	ds_bpermute_b32 v10, v0, v5                                // 0000000071F4: D87E0000 0A000500
	s_waitcnt lgkmcnt(1)                                       // 0000000071FC: BF8CC17F
	v_cmp_ngt_f32_e64 s[0:1], v7, v9                           // 000000007200: D04B0000 00021307
	s_mov_b64 s[18:19], -1                                     // 000000007208: BE9201C1
	s_mov_b64 s[16:17], -1                                     // 00000000720C: BE9001C1
	s_and_saveexec_b64 s[22:23], s[0:1]                        // 000000007210: BE962000
	s_cbranch_execz 7                                          // 000000007214: BF880007 <_ZN5aiter11PrefillTopKL10topKPerRowILi1024ELi2048ELi2048ELi512EEEvPvPKfPKiS6_PiPfii+0x5634>
	s_waitcnt lgkmcnt(0)                                       // 000000007218: BF8CC07F
	v_cmp_lt_i32_e64 s[0:1], v10, v5                           // 00000000721C: D0C10000 00020B0A
	v_cmp_eq_f32_e64 s[16:17], v7, v9                          // 000000007224: D0420010 00021307
	s_and_b64 s[0:1], s[0:1], s[16:17]                         // 00000000722C: 86801000
	s_orn2_b64 s[16:17], s[0:1], exec                          // 000000007230: 8A907E00
	s_or_b64 exec, exec, s[22:23]                              // 000000007234: 87FE167E
	s_xor_b64 s[0:1], s[4:5], s[16:17]                         // 000000007238: 88801004
	s_xor_b64 s[0:1], s[20:21], s[0:1]                         // 00000000723C: 88800014
	v_cndmask_b32_e64 v8, v7, v9, s[0:1]                       // 000000007240: D1000008 00021307
	s_waitcnt lgkmcnt(0)                                       // 000000007248: BF8CC07F
	v_cndmask_b32_e64 v7, v5, v10, s[0:1]                      // 00000000724C: D1000007 00021505
	v_xor_b32_e32 v5, 4, v2                                    // 000000007254: 2A0A0484
	v_cmp_lt_i32_e64 s[0:1], v5, v3                            // 000000007258: D0C10000 00020705
	s_nop 1                                                    // 000000007260: BF800001
	v_cndmask_b32_e64 v5, v2, v5, s[0:1]                       // 000000007264: D1000005 00020B02
	v_lshlrev_b32_e32 v5, 2, v5                                // 00000000726C: 240A0A82
	ds_bpermute_b32 v10, v5, v8                                // 000000007270: D87E0000 0A000805
	ds_bpermute_b32 v9, v5, v7                                 // 000000007278: D87E0000 09000705
	s_waitcnt lgkmcnt(1)                                       // 000000007280: BF8CC17F
	v_cmp_ngt_f32_e64 s[0:1], v8, v10                          // 000000007284: D04B0000 00021508
	s_and_saveexec_b64 s[20:21], s[0:1]                        // 00000000728C: BE942000
	s_cbranch_execz 7                                          // 000000007290: BF880007 <_ZN5aiter11PrefillTopKL10topKPerRowILi1024ELi2048ELi2048ELi512EEEvPvPKfPKiS6_PiPfii+0x56b0>
	s_waitcnt lgkmcnt(0)                                       // 000000007294: BF8CC07F
	v_cmp_lt_i32_e64 s[0:1], v9, v7                            // 000000007298: D0C10000 00020F09
	v_cmp_eq_f32_e64 s[16:17], v8, v10                         // 0000000072A0: D0420010 00021508
	s_and_b64 s[0:1], s[0:1], s[16:17]                         // 0000000072A8: 86801000
	s_orn2_b64 s[18:19], s[0:1], exec                          // 0000000072AC: 8A927E00
	s_or_b64 exec, exec, s[20:21]                              // 0000000072B0: 87FE147E
	v_and_b32_e32 v11, 8, v6                                   // 0000000072B4: 26160C88
	v_cmp_ne_u32_e64 s[16:17], 0, v11                          // 0000000072B8: D0CD0010 00021680
	s_xor_b64 s[20:21], vcc, s[16:17]                          // 0000000072C0: 8894106A
	s_xor_b64 s[0:1], s[14:15], s[18:19]                       // 0000000072C4: 8880120E
	s_xor_b64 s[0:1], s[20:21], s[0:1]                         // 0000000072C8: 88800014
	v_cndmask_b32_e64 v8, v8, v10, s[0:1]                      // 0000000072CC: D1000008 00021508
	ds_bpermute_b32 v10, v1, v8                                // 0000000072D4: D87E0000 0A000801
	s_waitcnt lgkmcnt(1)                                       // 0000000072DC: BF8CC17F
	v_cndmask_b32_e64 v9, v7, v9, s[0:1]                       // 0000000072E0: D1000009 00021307
	ds_bpermute_b32 v11, v1, v9                                // 0000000072E8: D87E0000 0B000901
	s_waitcnt lgkmcnt(1)                                       // 0000000072F0: BF8CC17F
	v_cmp_ngt_f32_e64 s[0:1], v8, v10                          // 0000000072F4: D04B0000 00021508
	s_mov_b64 s[22:23], -1                                     // 0000000072FC: BE9601C1
	s_mov_b64 s[18:19], -1                                     // 000000007300: BE9201C1
	s_and_saveexec_b64 s[30:31], s[0:1]                        // 000000007304: BE9E2000
	s_cbranch_execz 7                                          // 000000007308: BF880007 <_ZN5aiter11PrefillTopKL10topKPerRowILi1024ELi2048ELi2048ELi512EEEvPvPKfPKiS6_PiPfii+0x5728>
	s_waitcnt lgkmcnt(0)                                       // 00000000730C: BF8CC07F
	v_cmp_lt_i32_e64 s[0:1], v11, v9                           // 000000007310: D0C10000 0002130B
	v_cmp_eq_f32_e64 s[18:19], v8, v10                         // 000000007318: D0420012 00021508
	s_and_b64 s[0:1], s[0:1], s[18:19]                         // 000000007320: 86801200
	s_orn2_b64 s[18:19], s[0:1], exec                          // 000000007324: 8A927E00
	s_or_b64 exec, exec, s[30:31]                              // 000000007328: 87FE1E7E
	s_xor_b64 s[0:1], s[10:11], s[18:19]                       // 00000000732C: 8880120A
	s_xor_b64 s[0:1], s[20:21], s[0:1]                         // 000000007330: 88800014
	v_cndmask_b32_e64 v7, v8, v10, s[0:1]                      // 000000007334: D1000007 00021508
	s_waitcnt lgkmcnt(0)                                       // 00000000733C: BF8CC07F
	v_cndmask_b32_e64 v9, v9, v11, s[0:1]                      // 000000007340: D1000009 00021709
	ds_bpermute_b32 v8, v0, v7                                 // 000000007348: D87E0000 08000700
	ds_bpermute_b32 v10, v0, v9                                // 000000007350: D87E0000 0A000900
	s_waitcnt lgkmcnt(1)                                       // 000000007358: BF8CC17F
	v_cmp_ngt_f32_e64 s[0:1], v7, v8                           // 00000000735C: D04B0000 00021107
	s_and_saveexec_b64 s[30:31], s[0:1]                        // 000000007364: BE9E2000
	s_cbranch_execz 7                                          // 000000007368: BF880007 <_ZN5aiter11PrefillTopKL10topKPerRowILi1024ELi2048ELi2048ELi512EEEvPvPKfPKiS6_PiPfii+0x5788>
	s_waitcnt lgkmcnt(0)                                       // 00000000736C: BF8CC07F
	v_cmp_lt_i32_e64 s[0:1], v10, v9                           // 000000007370: D0C10000 0002130A
	v_cmp_eq_f32_e64 s[18:19], v7, v8                          // 000000007378: D0420012 00021107
	s_and_b64 s[0:1], s[0:1], s[18:19]                         // 000000007380: 86801200
	s_orn2_b64 s[22:23], s[0:1], exec                          // 000000007384: 8A967E00
	s_or_b64 exec, exec, s[30:31]                              // 000000007388: 87FE1E7E
	s_xor_b64 s[0:1], s[4:5], s[22:23]                         // 00000000738C: 88801604
	s_xor_b64 s[0:1], s[20:21], s[0:1]                         // 000000007390: 88800014
	v_cndmask_b32_e64 v8, v7, v8, s[0:1]                       // 000000007394: D1000008 00021107
	v_xor_b32_e32 v7, 8, v2                                    // 00000000739C: 2A0E0488
	v_cmp_lt_i32_e64 s[18:19], v7, v3                          // 0000000073A0: D0C10012 00020707
	s_nop 1                                                    // 0000000073A8: BF800001
	v_cndmask_b32_e64 v7, v2, v7, s[18:19]                     // 0000000073AC: D1000007 004A0F02
	v_lshlrev_b32_e32 v7, 2, v7                                // 0000000073B4: 240E0E82
	ds_bpermute_b32 v11, v7, v8                                // 0000000073B8: D87E0000 0B000807
	s_waitcnt lgkmcnt(1)                                       // 0000000073C0: BF8CC17F
	v_cndmask_b32_e64 v9, v9, v10, s[0:1]                      // 0000000073C4: D1000009 00021509
	ds_bpermute_b32 v10, v7, v9                                // 0000000073CC: D87E0000 0A000907
	s_waitcnt lgkmcnt(1)                                       // 0000000073D4: BF8CC17F
	v_cmp_ngt_f32_e64 s[0:1], v8, v11                          // 0000000073D8: D04B0000 00021708
	s_mov_b64 s[20:21], -1                                     // 0000000073E0: BE9401C1
	s_mov_b64 s[18:19], -1                                     // 0000000073E4: BE9201C1
	s_and_saveexec_b64 s[22:23], s[0:1]                        // 0000000073E8: BE962000
	s_cbranch_execz 7                                          // 0000000073EC: BF880007 <_ZN5aiter11PrefillTopKL10topKPerRowILi1024ELi2048ELi2048ELi512EEEvPvPKfPKiS6_PiPfii+0x580c>
	s_waitcnt lgkmcnt(0)                                       // 0000000073F0: BF8CC07F
	v_cmp_lt_i32_e64 s[0:1], v10, v9                           // 0000000073F4: D0C10000 0002130A
	v_cmp_eq_f32_e64 s[18:19], v8, v11                         // 0000000073FC: D0420012 00021708
	s_and_b64 s[0:1], s[0:1], s[18:19]                         // 000000007404: 86801200
	s_orn2_b64 s[18:19], s[0:1], exec                          // 000000007408: 8A927E00
	s_or_b64 exec, exec, s[22:23]                              // 00000000740C: 87FE167E
	v_and_b32_e32 v12, 16, v6                                  // 000000007410: 26180C90
	v_cmp_ne_u32_e64 s[0:1], 0, v12                            // 000000007414: D0CD0000 00021880
	s_xor_b64 s[22:23], vcc, s[0:1]                            // 00000000741C: 8896006A
	s_xor_b64 s[18:19], s[16:17], s[18:19]                     // 000000007420: 88921210
	s_xor_b64 s[18:19], s[22:23], s[18:19]                     // 000000007424: 88921216
	v_cndmask_b32_e64 v11, v8, v11, s[18:19]                   // 000000007428: D100000B 004A1708
	s_waitcnt lgkmcnt(0)                                       // 000000007430: BF8CC07F
	v_cndmask_b32_e64 v8, v9, v10, s[18:19]                    // 000000007434: D1000008 004A1509
	ds_bpermute_b32 v9, v5, v11                                // 00000000743C: D87E0000 09000B05
	ds_bpermute_b32 v10, v5, v8                                // 000000007444: D87E0000 0A000805
	s_waitcnt lgkmcnt(1)                                       // 00000000744C: BF8CC17F
	v_cmp_ngt_f32_e64 s[18:19], v11, v9                        // 000000007450: D04B0012 0002130B
	s_and_saveexec_b64 s[30:31], s[18:19]                      // 000000007458: BE9E2012
	s_cbranch_execz 7                                          // 00000000745C: BF880007 <_ZN5aiter11PrefillTopKL10topKPerRowILi1024ELi2048ELi2048ELi512EEEvPvPKfPKiS6_PiPfii+0x587c>
	s_waitcnt lgkmcnt(0)                                       // 000000007460: BF8CC07F
	v_cmp_lt_i32_e64 s[18:19], v10, v8                         // 000000007464: D0C10012 0002110A
	v_cmp_eq_f32_e64 s[20:21], v11, v9                         // 00000000746C: D0420014 0002130B
	s_and_b64 s[18:19], s[18:19], s[20:21]                     // 000000007474: 86921412
	s_orn2_b64 s[20:21], s[18:19], exec                        // 000000007478: 8A947E12
	s_or_b64 exec, exec, s[30:31]                              // 00000000747C: 87FE1E7E
	s_xor_b64 s[18:19], s[14:15], s[20:21]                     // 000000007480: 8892140E
	s_xor_b64 s[18:19], s[22:23], s[18:19]                     // 000000007484: 88921216
	v_cndmask_b32_e64 v9, v11, v9, s[18:19]                    // 000000007488: D1000009 004A130B
	ds_bpermute_b32 v11, v1, v9                                // 000000007490: D87E0000 0B000901
	s_waitcnt lgkmcnt(1)                                       // 000000007498: BF8CC17F
	v_cndmask_b32_e64 v8, v8, v10, s[18:19]                    // 00000000749C: D1000008 004A1508
	ds_bpermute_b32 v10, v1, v8                                // 0000000074A4: D87E0000 0A000801
	s_mov_b64 s[30:31], -1                                     // 0000000074AC: BE9E01C1
	s_waitcnt lgkmcnt(1)                                       // 0000000074B0: BF8CC17F
	v_cmp_ngt_f32_e64 s[18:19], v9, v11                        // 0000000074B4: D04B0012 00021709
	s_mov_b64 s[20:21], -1                                     // 0000000074BC: BE9401C1
	s_and_saveexec_b64 s[42:43], s[18:19]                      // 0000000074C0: BEAA2012
	s_cbranch_execz 7                                          // 0000000074C4: BF880007 <_ZN5aiter11PrefillTopKL10topKPerRowILi1024ELi2048ELi2048ELi512EEEvPvPKfPKiS6_PiPfii+0x58e4>
	s_waitcnt lgkmcnt(0)                                       // 0000000074C8: BF8CC07F
	v_cmp_lt_i32_e64 s[18:19], v10, v8                         // 0000000074CC: D0C10012 0002110A
	v_cmp_eq_f32_e64 s[20:21], v9, v11                         // 0000000074D4: D0420014 00021709
	s_and_b64 s[18:19], s[18:19], s[20:21]                     // 0000000074DC: 86921412
	s_orn2_b64 s[20:21], s[18:19], exec                        // 0000000074E0: 8A947E12
	s_or_b64 exec, exec, s[42:43]                              // 0000000074E4: 87FE2A7E
	s_xor_b64 s[18:19], s[10:11], s[20:21]                     // 0000000074E8: 8892140A
	s_xor_b64 s[18:19], s[22:23], s[18:19]                     // 0000000074EC: 88921216
	v_cndmask_b32_e64 v9, v9, v11, s[18:19]                    // 0000000074F0: D1000009 004A1709
	s_waitcnt lgkmcnt(0)                                       // 0000000074F8: BF8CC07F
	v_cndmask_b32_e64 v10, v8, v10, s[18:19]                   // 0000000074FC: D100000A 004A1508
	ds_bpermute_b32 v8, v0, v9                                 // 000000007504: D87E0000 08000900
	ds_bpermute_b32 v11, v0, v10                               // 00000000750C: D87E0000 0B000A00
	s_waitcnt lgkmcnt(1)                                       // 000000007514: BF8CC17F
	v_cmp_ngt_f32_e64 s[18:19], v9, v8                         // 000000007518: D04B0012 00021109
	s_and_saveexec_b64 s[42:43], s[18:19]                      // 000000007520: BEAA2012
	s_cbranch_execz 7                                          // 000000007524: BF880007 <_ZN5aiter11PrefillTopKL10topKPerRowILi1024ELi2048ELi2048ELi512EEEvPvPKfPKiS6_PiPfii+0x5944>
	s_waitcnt lgkmcnt(0)                                       // 000000007528: BF8CC07F
	v_cmp_lt_i32_e64 s[18:19], v11, v10                        // 00000000752C: D0C10012 0002150B
	v_cmp_eq_f32_e64 s[20:21], v9, v8                          // 000000007534: D0420014 00021109
	s_and_b64 s[18:19], s[18:19], s[20:21]                     // 00000000753C: 86921412
	s_orn2_b64 s[30:31], s[18:19], exec                        // 000000007540: 8A9E7E12
	s_or_b64 exec, exec, s[42:43]                              // 000000007544: 87FE2A7E
	s_xor_b64 s[18:19], s[4:5], s[30:31]                       // 000000007548: 88921E04
	s_xor_b64 s[18:19], s[22:23], s[18:19]                     // 00000000754C: 88921216
	v_cndmask_b32_e64 v9, v9, v8, s[18:19]                     // 000000007550: D1000009 004A1109
	v_xor_b32_e32 v8, 16, v2                                   // 000000007558: 2A100490
	v_cmp_lt_i32_e64 s[20:21], v8, v3                          // 00000000755C: D0C10014 00020708
	s_nop 1                                                    // 000000007564: BF800001
	v_cndmask_b32_e64 v8, v2, v8, s[20:21]                     // 000000007568: D1000008 00521102
	v_lshlrev_b32_e32 v8, 2, v8                                // 000000007570: 24101082
	ds_bpermute_b32 v12, v8, v9                                // 000000007574: D87E0000 0C000908
	s_waitcnt lgkmcnt(1)                                       // 00000000757C: BF8CC17F
	v_cndmask_b32_e64 v10, v10, v11, s[18:19]                  // 000000007580: D100000A 004A170A
	ds_bpermute_b32 v11, v8, v10                               // 000000007588: D87E0000 0B000A08
	s_waitcnt lgkmcnt(1)                                       // 000000007590: BF8CC17F
	v_cmp_ngt_f32_e64 s[18:19], v9, v12                        // 000000007594: D04B0012 00021909
	s_mov_b64 s[22:23], -1                                     // 00000000759C: BE9601C1
	s_mov_b64 s[20:21], -1                                     // 0000000075A0: BE9401C1
	s_and_saveexec_b64 s[30:31], s[18:19]                      // 0000000075A4: BE9E2012
	s_cbranch_execz 7                                          // 0000000075A8: BF880007 <_ZN5aiter11PrefillTopKL10topKPerRowILi1024ELi2048ELi2048ELi512EEEvPvPKfPKiS6_PiPfii+0x59c8>
	s_waitcnt lgkmcnt(0)                                       // 0000000075AC: BF8CC07F
	v_cmp_lt_i32_e64 s[18:19], v11, v10                        // 0000000075B0: D0C10012 0002150B
	v_cmp_eq_f32_e64 s[20:21], v9, v12                         // 0000000075B8: D0420014 00021909
	s_and_b64 s[18:19], s[18:19], s[20:21]                     // 0000000075C0: 86921412
	s_orn2_b64 s[20:21], s[18:19], exec                        // 0000000075C4: 8A947E12
	s_or_b64 exec, exec, s[30:31]                              // 0000000075C8: 87FE1E7E
	v_and_b32_e32 v13, 32, v6                                  // 0000000075CC: 261A0CA0
	v_cmp_ne_u32_e64 s[18:19], 0, v13                          // 0000000075D0: D0CD0012 00021A80
	s_xor_b64 s[30:31], vcc, s[18:19]                          // 0000000075D8: 889E126A
	s_xor_b64 s[20:21], s[0:1], s[20:21]                       // 0000000075DC: 88941400
	s_xor_b64 s[20:21], s[30:31], s[20:21]                     // 0000000075E0: 8894141E
	v_cndmask_b32_e64 v12, v9, v12, s[20:21]                   // 0000000075E4: D100000C 00521909
	s_waitcnt lgkmcnt(0)                                       // 0000000075EC: BF8CC07F
	v_cndmask_b32_e64 v9, v10, v11, s[20:21]                   // 0000000075F0: D1000009 0052170A
	ds_bpermute_b32 v10, v7, v12                               // 0000000075F8: D87E0000 0A000C07
	ds_bpermute_b32 v11, v7, v9                                // 000000007600: D87E0000 0B000907
	s_waitcnt lgkmcnt(1)                                       // 000000007608: BF8CC17F
	v_cmp_ngt_f32_e64 s[20:21], v12, v10                       // 00000000760C: D04B0014 0002150C
	s_and_saveexec_b64 s[42:43], s[20:21]                      // 000000007614: BEAA2014
	s_cbranch_execz 7                                          // 000000007618: BF880007 <_ZN5aiter11PrefillTopKL10topKPerRowILi1024ELi2048ELi2048ELi512EEEvPvPKfPKiS6_PiPfii+0x5a38>
	s_waitcnt lgkmcnt(0)                                       // 00000000761C: BF8CC07F
	v_cmp_lt_i32_e64 s[20:21], v11, v9                         // 000000007620: D0C10014 0002130B
	v_cmp_eq_f32_e64 s[22:23], v12, v10                        // 000000007628: D0420016 0002150C
	s_and_b64 s[20:21], s[20:21], s[22:23]                     // 000000007630: 86941614
	s_orn2_b64 s[22:23], s[20:21], exec                        // 000000007634: 8A967E14
	s_or_b64 exec, exec, s[42:43]                              // 000000007638: 87FE2A7E
	s_xor_b64 s[20:21], s[16:17], s[22:23]                     // 00000000763C: 88941610
	s_xor_b64 s[20:21], s[30:31], s[20:21]                     // 000000007640: 8894141E
	v_cndmask_b32_e64 v10, v12, v10, s[20:21]                  // 000000007644: D100000A 0052150C
	ds_bpermute_b32 v12, v5, v10                               // 00000000764C: D87E0000 0C000A05
	s_waitcnt lgkmcnt(1)                                       // 000000007654: BF8CC17F
	v_cndmask_b32_e64 v9, v9, v11, s[20:21]                    // 000000007658: D1000009 00521709
	ds_bpermute_b32 v11, v5, v9                                // 000000007660: D87E0000 0B000905
	s_mov_b64 s[42:43], -1                                     // 000000007668: BEAA01C1
	s_waitcnt lgkmcnt(1)                                       // 00000000766C: BF8CC17F
	v_cmp_ngt_f32_e64 s[20:21], v10, v12                       // 000000007670: D04B0014 0002190A
	s_mov_b64 s[22:23], -1                                     // 000000007678: BE9601C1
	s_and_saveexec_b64 s[44:45], s[20:21]                      // 00000000767C: BEAC2014
	s_cbranch_execz 7                                          // 000000007680: BF880007 <_ZN5aiter11PrefillTopKL10topKPerRowILi1024ELi2048ELi2048ELi512EEEvPvPKfPKiS6_PiPfii+0x5aa0>
	s_waitcnt lgkmcnt(0)                                       // 000000007684: BF8CC07F
	v_cmp_lt_i32_e64 s[20:21], v11, v9                         // 000000007688: D0C10014 0002130B
	v_cmp_eq_f32_e64 s[22:23], v10, v12                        // 000000007690: D0420016 0002190A
	s_and_b64 s[20:21], s[20:21], s[22:23]                     // 000000007698: 86941614
	s_orn2_b64 s[22:23], s[20:21], exec                        // 00000000769C: 8A967E14
	s_or_b64 exec, exec, s[44:45]                              // 0000000076A0: 87FE2C7E
	s_xor_b64 s[20:21], s[14:15], s[22:23]                     // 0000000076A4: 8894160E
	s_xor_b64 s[20:21], s[30:31], s[20:21]                     // 0000000076A8: 8894141E
	v_cndmask_b32_e64 v10, v10, v12, s[20:21]                  // 0000000076AC: D100000A 0052190A
	s_waitcnt lgkmcnt(0)                                       // 0000000076B4: BF8CC07F
	v_cndmask_b32_e64 v9, v9, v11, s[20:21]                    // 0000000076B8: D1000009 00521709
	ds_bpermute_b32 v12, v1, v10                               // 0000000076C0: D87E0000 0C000A01
	ds_bpermute_b32 v11, v1, v9                                // 0000000076C8: D87E0000 0B000901
	s_waitcnt lgkmcnt(1)                                       // 0000000076D0: BF8CC17F
	v_cmp_ngt_f32_e64 s[20:21], v10, v12                       // 0000000076D4: D04B0014 0002190A
	s_and_saveexec_b64 s[44:45], s[20:21]                      // 0000000076DC: BEAC2014
	s_cbranch_execz 7                                          // 0000000076E0: BF880007 <_ZN5aiter11PrefillTopKL10topKPerRowILi1024ELi2048ELi2048ELi512EEEvPvPKfPKiS6_PiPfii+0x5b00>
	s_waitcnt lgkmcnt(0)                                       // 0000000076E4: BF8CC07F
	v_cmp_lt_i32_e64 s[20:21], v11, v9                         // 0000000076E8: D0C10014 0002130B
	v_cmp_eq_f32_e64 s[22:23], v10, v12                        // 0000000076F0: D0420016 0002190A
	s_and_b64 s[20:21], s[20:21], s[22:23]                     // 0000000076F8: 86941614
	s_orn2_b64 s[42:43], s[20:21], exec                        // 0000000076FC: 8AAA7E14
	s_or_b64 exec, exec, s[44:45]                              // 000000007700: 87FE2C7E
	s_xor_b64 s[20:21], s[10:11], s[42:43]                     // 000000007704: 88942A0A
	s_xor_b64 s[20:21], s[30:31], s[20:21]                     // 000000007708: 8894141E
	v_cndmask_b32_e64 v10, v10, v12, s[20:21]                  // 00000000770C: D100000A 0052190A
	ds_bpermute_b32 v12, v0, v10                               // 000000007714: D87E0000 0C000A00
	s_waitcnt lgkmcnt(1)                                       // 00000000771C: BF8CC17F
	v_cndmask_b32_e64 v9, v9, v11, s[20:21]                    // 000000007720: D1000009 00521709
	ds_bpermute_b32 v11, v0, v9                                // 000000007728: D87E0000 0B000900
	s_mov_b64 s[42:43], -1                                     // 000000007730: BEAA01C1
	s_waitcnt lgkmcnt(1)                                       // 000000007734: BF8CC17F
	v_cmp_ngt_f32_e64 s[20:21], v10, v12                       // 000000007738: D04B0014 0002190A
	s_mov_b64 s[22:23], -1                                     // 000000007740: BE9601C1
	s_and_saveexec_b64 s[44:45], s[20:21]                      // 000000007744: BEAC2014
	s_cbranch_execz 7                                          // 000000007748: BF880007 <_ZN5aiter11PrefillTopKL10topKPerRowILi1024ELi2048ELi2048ELi512EEEvPvPKfPKiS6_PiPfii+0x5b68>
	s_waitcnt lgkmcnt(0)                                       // 00000000774C: BF8CC07F
	v_cmp_lt_i32_e64 s[20:21], v11, v9                         // 000000007750: D0C10014 0002130B
	v_cmp_eq_f32_e64 s[22:23], v10, v12                        // 000000007758: D0420016 0002190A
	s_and_b64 s[20:21], s[20:21], s[22:23]                     // 000000007760: 86941614
	s_orn2_b64 s[22:23], s[20:21], exec                        // 000000007764: 8A967E14
	s_or_b64 exec, exec, s[44:45]                              // 000000007768: 87FE2C7E
	s_xor_b64 s[20:21], s[4:5], s[22:23]                       // 00000000776C: 88941604
	s_xor_b64 s[20:21], s[30:31], s[20:21]                     // 000000007770: 8894141E
	v_cndmask_b32_e64 v10, v10, v12, s[20:21]                  // 000000007774: D100000A 0052190A
	s_waitcnt lgkmcnt(0)                                       // 00000000777C: BF8CC07F
	v_cndmask_b32_e64 v9, v9, v11, s[20:21]                    // 000000007780: D1000009 00521709
	v_xor_b32_e32 v11, 32, v2                                  // 000000007788: 2A1604A0
	v_cmp_lt_i32_e64 s[20:21], v11, v3                         // 00000000778C: D0C10014 0002070B
	s_nop 1                                                    // 000000007794: BF800001
	v_cndmask_b32_e64 v2, v2, v11, s[20:21]                    // 000000007798: D1000002 00521702
	v_lshlrev_b32_e32 v3, 2, v2                                // 0000000077A0: 24060482
	ds_bpermute_b32 v2, v3, v10                                // 0000000077A4: D87E0000 02000A03
	ds_bpermute_b32 v3, v3, v9                                 // 0000000077AC: D87E0000 03000903
	s_waitcnt lgkmcnt(1)                                       // 0000000077B4: BF8CC17F
	v_cmp_ngt_f32_e64 s[20:21], v10, v2                        // 0000000077B8: D04B0014 0002050A
	s_and_saveexec_b64 s[30:31], s[20:21]                      // 0000000077C0: BE9E2014
	s_cbranch_execz 7                                          // 0000000077C4: BF880007 <_ZN5aiter11PrefillTopKL10topKPerRowILi1024ELi2048ELi2048ELi512EEEvPvPKfPKiS6_PiPfii+0x5be4>
	s_waitcnt lgkmcnt(0)                                       // 0000000077C8: BF8CC07F
	v_cmp_lt_i32_e64 s[20:21], v3, v9                          // 0000000077CC: D0C10014 00021303
	v_cmp_eq_f32_e64 s[22:23], v10, v2                         // 0000000077D4: D0420016 0002050A
	s_and_b64 s[20:21], s[20:21], s[22:23]                     // 0000000077DC: 86941614
	s_orn2_b64 s[42:43], s[20:21], exec                        // 0000000077E0: 8AAA7E14
	s_or_b64 exec, exec, s[30:31]                              // 0000000077E4: 87FE1E7E
	s_xor_b64 s[18:19], s[18:19], s[42:43]                     // 0000000077E8: 88922A12
	s_xor_b64 s[18:19], vcc, s[18:19]                          // 0000000077EC: 8892126A
	v_cndmask_b32_e64 v2, v10, v2, s[18:19]                    // 0000000077F0: D1000002 004A050A
	ds_bpermute_b32 v10, v8, v2                                // 0000000077F8: D87E0000 0A000208
	s_waitcnt lgkmcnt(1)                                       // 000000007800: BF8CC17F
	v_cndmask_b32_e64 v3, v9, v3, s[18:19]                     // 000000007804: D1000003 004A0709
	ds_bpermute_b32 v9, v8, v3                                 // 00000000780C: D87E0000 09000308
	s_mov_b64 s[22:23], -1                                     // 000000007814: BE9601C1
	s_waitcnt lgkmcnt(1)                                       // 000000007818: BF8CC17F
	v_cmp_ngt_f32_e64 s[18:19], v2, v10                        // 00000000781C: D04B0012 00021502
	s_mov_b64 s[20:21], -1                                     // 000000007824: BE9401C1
	s_and_saveexec_b64 s[30:31], s[18:19]                      // 000000007828: BE9E2012
	s_cbranch_execz 7                                          // 00000000782C: BF880007 <_ZN5aiter11PrefillTopKL10topKPerRowILi1024ELi2048ELi2048ELi512EEEvPvPKfPKiS6_PiPfii+0x5c4c>
	s_waitcnt lgkmcnt(0)                                       // 000000007830: BF8CC07F
	v_cmp_lt_i32_e64 s[18:19], v9, v3                          // 000000007834: D0C10012 00020709
	v_cmp_eq_f32_e64 s[20:21], v2, v10                         // 00000000783C: D0420014 00021502
	s_and_b64 s[18:19], s[18:19], s[20:21]                     // 000000007844: 86921412
	s_orn2_b64 s[20:21], s[18:19], exec                        // 000000007848: 8A947E12
	s_or_b64 exec, exec, s[30:31]                              // 00000000784C: 87FE1E7E
	s_xor_b64 s[0:1], s[0:1], s[20:21]                         // 000000007850: 88801400
	s_xor_b64 s[0:1], vcc, s[0:1]                              // 000000007854: 8880006A
	v_cndmask_b32_e64 v8, v2, v10, s[0:1]                      // 000000007858: D1000008 00021502
	s_waitcnt lgkmcnt(0)                                       // 000000007860: BF8CC07F
	v_cndmask_b32_e64 v2, v3, v9, s[0:1]                       // 000000007864: D1000002 00021303
	ds_bpermute_b32 v3, v7, v8                                 // 00000000786C: D87E0000 03000807
	ds_bpermute_b32 v7, v7, v2                                 // 000000007874: D87E0000 07000207
	s_waitcnt lgkmcnt(1)                                       // 00000000787C: BF8CC17F
	v_cmp_ngt_f32_e64 s[0:1], v8, v3                           // 000000007880: D04B0000 00020708
	s_and_saveexec_b64 s[20:21], s[0:1]                        // 000000007888: BE942000
	s_cbranch_execz 7                                          // 00000000788C: BF880007 <_ZN5aiter11PrefillTopKL10topKPerRowILi1024ELi2048ELi2048ELi512EEEvPvPKfPKiS6_PiPfii+0x5cac>
	s_waitcnt lgkmcnt(0)                                       // 000000007890: BF8CC07F
	v_cmp_lt_i32_e64 s[0:1], v7, v2                            // 000000007894: D0C10000 00020507
	v_cmp_eq_f32_e64 s[18:19], v8, v3                          // 00000000789C: D0420012 00020708
	s_and_b64 s[0:1], s[0:1], s[18:19]                         // 0000000078A4: 86801200
	s_orn2_b64 s[22:23], s[0:1], exec                          // 0000000078A8: 8A967E00
	s_or_b64 exec, exec, s[20:21]                              // 0000000078AC: 87FE147E
	s_xor_b64 s[0:1], s[16:17], s[22:23]                       // 0000000078B0: 88801610
	s_xor_b64 s[0:1], vcc, s[0:1]                              // 0000000078B4: 8880006A
	v_cndmask_b32_e64 v3, v8, v3, s[0:1]                       // 0000000078B8: D1000003 00020708
	ds_bpermute_b32 v8, v5, v3                                 // 0000000078C0: D87E0000 08000305
	s_waitcnt lgkmcnt(1)                                       // 0000000078C8: BF8CC17F
	v_cndmask_b32_e64 v2, v2, v7, s[0:1]                       // 0000000078CC: D1000002 00020F02
	ds_bpermute_b32 v5, v5, v2                                 // 0000000078D4: D87E0000 05000205
	s_mov_b64 s[18:19], -1                                     // 0000000078DC: BE9201C1
	s_waitcnt lgkmcnt(1)                                       // 0000000078E0: BF8CC17F
	v_cmp_ngt_f32_e64 s[0:1], v3, v8                           // 0000000078E4: D04B0000 00021103
	s_mov_b64 s[16:17], -1                                     // 0000000078EC: BE9001C1
	s_and_saveexec_b64 s[20:21], s[0:1]                        // 0000000078F0: BE942000
	s_cbranch_execz 7                                          // 0000000078F4: BF880007 <_ZN5aiter11PrefillTopKL10topKPerRowILi1024ELi2048ELi2048ELi512EEEvPvPKfPKiS6_PiPfii+0x5d14>
	s_waitcnt lgkmcnt(0)                                       // 0000000078F8: BF8CC07F
	v_cmp_lt_i32_e64 s[0:1], v5, v2                            // 0000000078FC: D0C10000 00020505
	v_cmp_eq_f32_e64 s[16:17], v3, v8                          // 000000007904: D0420010 00021103
	s_and_b64 s[0:1], s[0:1], s[16:17]                         // 00000000790C: 86801000
	s_orn2_b64 s[16:17], s[0:1], exec                          // 000000007910: 8A907E00
	s_or_b64 exec, exec, s[20:21]                              // 000000007914: 87FE147E
	s_xor_b64 s[0:1], s[14:15], s[16:17]                       // 000000007918: 8880100E
	s_xor_b64 s[0:1], vcc, s[0:1]                              // 00000000791C: 8880006A
	v_cndmask_b32_e64 v3, v3, v8, s[0:1]                       // 000000007920: D1000003 00021103
	s_waitcnt lgkmcnt(0)                                       // 000000007928: BF8CC07F
	v_cndmask_b32_e64 v2, v2, v5, s[0:1]                       // 00000000792C: D1000002 00020B02
	ds_bpermute_b32 v7, v1, v3                                 // 000000007934: D87E0000 07000301
	ds_bpermute_b32 v5, v1, v2                                 // 00000000793C: D87E0000 05000201
	s_waitcnt lgkmcnt(1)                                       // 000000007944: BF8CC17F
	v_cmp_ngt_f32_e64 s[0:1], v3, v7                           // 000000007948: D04B0000 00020F03
	s_and_saveexec_b64 s[16:17], s[0:1]                        // 000000007950: BE902000
	s_cbranch_execz 7                                          // 000000007954: BF880007 <_ZN5aiter11PrefillTopKL10topKPerRowILi1024ELi2048ELi2048ELi512EEEvPvPKfPKiS6_PiPfii+0x5d74>
	s_waitcnt lgkmcnt(0)                                       // 000000007958: BF8CC07F
	v_cmp_lt_i32_e64 s[0:1], v5, v2                            // 00000000795C: D0C10000 00020505
	v_cmp_eq_f32_e64 s[14:15], v3, v7                          // 000000007964: D042000E 00020F03
	s_and_b64 s[0:1], s[0:1], s[14:15]                         // 00000000796C: 86800E00
	s_orn2_b64 s[18:19], s[0:1], exec                          // 000000007970: 8A927E00
	s_or_b64 exec, exec, s[16:17]                              // 000000007974: 87FE107E
	s_xor_b64 s[0:1], s[10:11], s[18:19]                       // 000000007978: 8880120A
	s_xor_b64 s[0:1], vcc, s[0:1]                              // 00000000797C: 8880006A
	v_cndmask_b32_e64 v1, v3, v7, s[0:1]                       // 000000007980: D1000001 00020F03
	ds_bpermute_b32 v3, v0, v1                                 // 000000007988: D87E0000 03000100
	s_waitcnt lgkmcnt(1)                                       // 000000007990: BF8CC17F
	v_cndmask_b32_e64 v2, v2, v5, s[0:1]                       // 000000007994: D1000002 00020B02
	ds_bpermute_b32 v0, v0, v2                                 // 00000000799C: D87E0000 00000200
	s_waitcnt lgkmcnt(1)                                       // 0000000079A4: BF8CC17F
	v_cmp_ngt_f32_e64 s[0:1], v1, v3                           // 0000000079A8: D04B0000 00020701
	s_mov_b64 s[10:11], -1                                     // 0000000079B0: BE8A01C1
	s_and_saveexec_b64 s[14:15], s[0:1]                        // 0000000079B4: BE8E2000
	s_cbranch_execz 7                                          // 0000000079B8: BF880007 <_ZN5aiter11PrefillTopKL10topKPerRowILi1024ELi2048ELi2048ELi512EEEvPvPKfPKiS6_PiPfii+0x5dd8>
	s_waitcnt lgkmcnt(0)                                       // 0000000079BC: BF8CC07F
	v_cmp_lt_i32_e64 s[0:1], v0, v2                            // 0000000079C0: D0C10000 00020500
	v_cmp_eq_f32_e64 s[10:11], v1, v3                          // 0000000079C8: D042000A 00020701
	s_and_b64 s[0:1], s[0:1], s[10:11]                         // 0000000079D0: 86800A00
	s_orn2_b64 s[10:11], s[0:1], exec                          // 0000000079D4: 8A8A7E00
	s_or_b64 exec, exec, s[14:15]                              // 0000000079D8: 87FE0E7E
	v_or_b32_e32 v5, 0x2000, v18                               // 0000000079DC: 280A24FF 00002000
	s_xor_b64 s[0:1], s[4:5], s[10:11]                         // 0000000079E4: 88800A04
	s_xor_b64 vcc, vcc, s[0:1]                                 // 0000000079E8: 88EA006A
	s_waitcnt lgkmcnt(0)                                       // 0000000079EC: BF8CC07F
	v_cndmask_b32_e32 v0, v2, v0, vcc                          // 0000000079F0: 00000102
	v_cndmask_b32_e32 v1, v1, v3, vcc                          // 0000000079F4: 00020701
	ds_write2st64_b32 v18, v0, v1 offset0:32 offset1:40        // 0000000079F8: D81E2820 00010012
	s_waitcnt lgkmcnt(0)                                       // 000000007A00: BF8CC07F
	s_barrier                                                  // 000000007A04: BF8A0000
	v_xor_b32_e32 v2, 64, v6                                   // 000000007A08: 2A040CC0
	v_cmp_gt_u32_e32 vcc, v2, v6                               // 000000007A0C: 7D980D02
	s_and_saveexec_b64 s[4:5], vcc                             // 000000007A10: BE84206A
	s_cbranch_execz 29                                         // 000000007A14: BF88001D <_ZN5aiter11PrefillTopKL10topKPerRowILi1024ELi2048ELi2048ELi512EEEvPvPKfPKiS6_PiPfii+0x5e8c>
	ds_read2st64_b32 v[0:1], v5 offset1:8                      // 000000007A18: D8700800 00000005
	v_lshlrev_b32_e32 v7, 2, v2                                // 000000007A20: 240E0482
	ds_read2st64_b32 v[2:3], v7 offset0:32 offset1:40          // 000000007A24: D8702820 02000007
	v_or_b32_e32 v7, 0x2000, v7                                // 000000007A2C: 280E0EFF 00002000
	s_waitcnt lgkmcnt(0)                                       // 000000007A34: BF8CC07F
	v_cmp_ngt_f32_e32 vcc, v1, v3                              // 000000007A38: 7C960701
	s_mov_b64 s[0:1], -1                                       // 000000007A3C: BE8001C1
	s_and_saveexec_b64 s[10:11], vcc                           // 000000007A40: BE8A206A
	v_cmp_eq_f32_e32 vcc, v1, v3                               // 000000007A44: 7C840701
	v_cmp_gt_i32_e64 s[0:1], v0, v2                            // 000000007A48: D0C40000 00020500
	s_and_b64 s[0:1], vcc, s[0:1]                              // 000000007A50: 8680006A
	s_orn2_b64 s[0:1], s[0:1], exec                            // 000000007A54: 8A807E00
	s_or_b64 exec, exec, s[10:11]                              // 000000007A58: 87FE0A7E
	v_cndmask_b32_e64 v8, v3, v1, s[0:1]                       // 000000007A5C: D1000008 00020303
	v_cndmask_b32_e64 v1, v1, v3, s[0:1]                       // 000000007A64: D1000001 00020701
	v_cndmask_b32_e64 v3, v2, v0, s[0:1]                       // 000000007A6C: D1000003 00020102
	ds_write2st64_b32 v5, v3, v8 offset1:8                     // 000000007A74: D81E0800 00080305
	v_cndmask_b32_e64 v0, v0, v2, s[0:1]                       // 000000007A7C: D1000000 00020500
	ds_write2st64_b32 v7, v0, v1 offset1:8                     // 000000007A84: D81E0800 00010007
	s_or_b64 exec, exec, s[4:5]                                // 000000007A8C: 87FE047E
	s_waitcnt lgkmcnt(0)                                       // 000000007A90: BF8CC07F
	s_barrier                                                  // 000000007A94: BF8A0000
	v_xor_b32_e32 v2, 32, v6                                   // 000000007A98: 2A040CA0
	v_cmp_gt_u32_e32 vcc, v2, v6                               // 000000007A9C: 7D980D02
	s_and_saveexec_b64 s[4:5], vcc                             // 000000007AA0: BE84206A
	s_cbranch_execz 29                                         // 000000007AA4: BF88001D <_ZN5aiter11PrefillTopKL10topKPerRowILi1024ELi2048ELi2048ELi512EEEvPvPKfPKiS6_PiPfii+0x5f1c>
	ds_read2st64_b32 v[0:1], v5 offset1:8                      // 000000007AA8: D8700800 00000005
	v_lshlrev_b32_e32 v7, 2, v2                                // 000000007AB0: 240E0482
	ds_read2st64_b32 v[2:3], v7 offset0:32 offset1:40          // 000000007AB4: D8702820 02000007
	v_or_b32_e32 v7, 0x2000, v7                                // 000000007ABC: 280E0EFF 00002000
	s_waitcnt lgkmcnt(0)                                       // 000000007AC4: BF8CC07F
	v_cmp_ngt_f32_e32 vcc, v1, v3                              // 000000007AC8: 7C960701
	s_mov_b64 s[0:1], -1                                       // 000000007ACC: BE8001C1
	s_and_saveexec_b64 s[10:11], vcc                           // 000000007AD0: BE8A206A
	v_cmp_eq_f32_e32 vcc, v1, v3                               // 000000007AD4: 7C840701
	v_cmp_gt_i32_e64 s[0:1], v0, v2                            // 000000007AD8: D0C40000 00020500
	s_and_b64 s[0:1], vcc, s[0:1]                              // 000000007AE0: 8680006A
	s_orn2_b64 s[0:1], s[0:1], exec                            // 000000007AE4: 8A807E00
	s_or_b64 exec, exec, s[10:11]                              // 000000007AE8: 87FE0A7E
	v_cndmask_b32_e64 v8, v3, v1, s[0:1]                       // 000000007AEC: D1000008 00020303
	v_cndmask_b32_e64 v1, v1, v3, s[0:1]                       // 000000007AF4: D1000001 00020701
	v_cndmask_b32_e64 v3, v2, v0, s[0:1]                       // 000000007AFC: D1000003 00020102
	ds_write2st64_b32 v5, v3, v8 offset1:8                     // 000000007B04: D81E0800 00080305
	v_cndmask_b32_e64 v0, v0, v2, s[0:1]                       // 000000007B0C: D1000000 00020500
	ds_write2st64_b32 v7, v0, v1 offset1:8                     // 000000007B14: D81E0800 00010007
	s_or_b64 exec, exec, s[4:5]                                // 000000007B1C: 87FE047E
	s_waitcnt lgkmcnt(0)                                       // 000000007B20: BF8CC07F
	s_barrier                                                  // 000000007B24: BF8A0000
	v_xor_b32_e32 v2, 16, v6                                   // 000000007B28: 2A040C90
	v_cmp_gt_u32_e32 vcc, v2, v6                               // 000000007B2C: 7D980D02
	s_and_saveexec_b64 s[4:5], vcc                             // 000000007B30: BE84206A
	s_cbranch_execz 29                                         // 000000007B34: BF88001D <_ZN5aiter11PrefillTopKL10topKPerRowILi1024ELi2048ELi2048ELi512EEEvPvPKfPKiS6_PiPfii+0x5fac>
	ds_read2st64_b32 v[0:1], v5 offset1:8                      // 000000007B38: D8700800 00000005
	v_lshlrev_b32_e32 v7, 2, v2                                // 000000007B40: 240E0482
	ds_read2st64_b32 v[2:3], v7 offset0:32 offset1:40          // 000000007B44: D8702820 02000007
	v_or_b32_e32 v7, 0x2000, v7                                // 000000007B4C: 280E0EFF 00002000
	s_waitcnt lgkmcnt(0)                                       // 000000007B54: BF8CC07F
	v_cmp_ngt_f32_e32 vcc, v1, v3                              // 000000007B58: 7C960701
	s_mov_b64 s[0:1], -1                                       // 000000007B5C: BE8001C1
	s_and_saveexec_b64 s[10:11], vcc                           // 000000007B60: BE8A206A
	v_cmp_eq_f32_e32 vcc, v1, v3                               // 000000007B64: 7C840701
	v_cmp_gt_i32_e64 s[0:1], v0, v2                            // 000000007B68: D0C40000 00020500
	s_and_b64 s[0:1], vcc, s[0:1]                              // 000000007B70: 8680006A
	s_orn2_b64 s[0:1], s[0:1], exec                            // 000000007B74: 8A807E00
	s_or_b64 exec, exec, s[10:11]                              // 000000007B78: 87FE0A7E
	v_cndmask_b32_e64 v8, v3, v1, s[0:1]                       // 000000007B7C: D1000008 00020303
	v_cndmask_b32_e64 v1, v1, v3, s[0:1]                       // 000000007B84: D1000001 00020701
	v_cndmask_b32_e64 v3, v2, v0, s[0:1]                       // 000000007B8C: D1000003 00020102
	ds_write2st64_b32 v5, v3, v8 offset1:8                     // 000000007B94: D81E0800 00080305
	v_cndmask_b32_e64 v0, v0, v2, s[0:1]                       // 000000007B9C: D1000000 00020500
	ds_write2st64_b32 v7, v0, v1 offset1:8                     // 000000007BA4: D81E0800 00010007
	s_or_b64 exec, exec, s[4:5]                                // 000000007BAC: 87FE047E
	s_waitcnt lgkmcnt(0)                                       // 000000007BB0: BF8CC07F
	s_barrier                                                  // 000000007BB4: BF8A0000
	v_xor_b32_e32 v2, 8, v6                                    // 000000007BB8: 2A040C88
	v_cmp_gt_u32_e32 vcc, v2, v6                               // 000000007BBC: 7D980D02
	s_and_saveexec_b64 s[4:5], vcc                             // 000000007BC0: BE84206A
	s_cbranch_execz 29                                         // 000000007BC4: BF88001D <_ZN5aiter11PrefillTopKL10topKPerRowILi1024ELi2048ELi2048ELi512EEEvPvPKfPKiS6_PiPfii+0x603c>
	ds_read2st64_b32 v[0:1], v5 offset1:8                      // 000000007BC8: D8700800 00000005
	v_lshlrev_b32_e32 v7, 2, v2                                // 000000007BD0: 240E0482
	ds_read2st64_b32 v[2:3], v7 offset0:32 offset1:40          // 000000007BD4: D8702820 02000007
	v_or_b32_e32 v7, 0x2000, v7                                // 000000007BDC: 280E0EFF 00002000
	s_waitcnt lgkmcnt(0)                                       // 000000007BE4: BF8CC07F
	v_cmp_ngt_f32_e32 vcc, v1, v3                              // 000000007BE8: 7C960701
	s_mov_b64 s[0:1], -1                                       // 000000007BEC: BE8001C1
	s_and_saveexec_b64 s[10:11], vcc                           // 000000007BF0: BE8A206A
	v_cmp_eq_f32_e32 vcc, v1, v3                               // 000000007BF4: 7C840701
	v_cmp_gt_i32_e64 s[0:1], v0, v2                            // 000000007BF8: D0C40000 00020500
	s_and_b64 s[0:1], vcc, s[0:1]                              // 000000007C00: 8680006A
	s_orn2_b64 s[0:1], s[0:1], exec                            // 000000007C04: 8A807E00
	s_or_b64 exec, exec, s[10:11]                              // 000000007C08: 87FE0A7E
	v_cndmask_b32_e64 v8, v3, v1, s[0:1]                       // 000000007C0C: D1000008 00020303
	v_cndmask_b32_e64 v1, v1, v3, s[0:1]                       // 000000007C14: D1000001 00020701
	v_cndmask_b32_e64 v3, v2, v0, s[0:1]                       // 000000007C1C: D1000003 00020102
	ds_write2st64_b32 v5, v3, v8 offset1:8                     // 000000007C24: D81E0800 00080305
	v_cndmask_b32_e64 v0, v0, v2, s[0:1]                       // 000000007C2C: D1000000 00020500
	ds_write2st64_b32 v7, v0, v1 offset1:8                     // 000000007C34: D81E0800 00010007
	s_or_b64 exec, exec, s[4:5]                                // 000000007C3C: 87FE047E
	s_waitcnt lgkmcnt(0)                                       // 000000007C40: BF8CC07F
	s_barrier                                                  // 000000007C44: BF8A0000
	v_xor_b32_e32 v2, 4, v6                                    // 000000007C48: 2A040C84
	v_cmp_gt_u32_e32 vcc, v2, v6                               // 000000007C4C: 7D980D02
	s_and_saveexec_b64 s[4:5], vcc                             // 000000007C50: BE84206A
	s_cbranch_execz 29                                         // 000000007C54: BF88001D <_ZN5aiter11PrefillTopKL10topKPerRowILi1024ELi2048ELi2048ELi512EEEvPvPKfPKiS6_PiPfii+0x60cc>
	ds_read2st64_b32 v[0:1], v5 offset1:8                      // 000000007C58: D8700800 00000005
	v_lshlrev_b32_e32 v7, 2, v2                                // 000000007C60: 240E0482
	ds_read2st64_b32 v[2:3], v7 offset0:32 offset1:40          // 000000007C64: D8702820 02000007
	v_or_b32_e32 v7, 0x2000, v7                                // 000000007C6C: 280E0EFF 00002000
	s_waitcnt lgkmcnt(0)                                       // 000000007C74: BF8CC07F
	v_cmp_ngt_f32_e32 vcc, v1, v3                              // 000000007C78: 7C960701
	s_mov_b64 s[0:1], -1                                       // 000000007C7C: BE8001C1
	s_and_saveexec_b64 s[10:11], vcc                           // 000000007C80: BE8A206A
	v_cmp_eq_f32_e32 vcc, v1, v3                               // 000000007C84: 7C840701
	v_cmp_gt_i32_e64 s[0:1], v0, v2                            // 000000007C88: D0C40000 00020500
	s_and_b64 s[0:1], vcc, s[0:1]                              // 000000007C90: 8680006A
	s_orn2_b64 s[0:1], s[0:1], exec                            // 000000007C94: 8A807E00
	s_or_b64 exec, exec, s[10:11]                              // 000000007C98: 87FE0A7E
	v_cndmask_b32_e64 v8, v3, v1, s[0:1]                       // 000000007C9C: D1000008 00020303
	v_cndmask_b32_e64 v1, v1, v3, s[0:1]                       // 000000007CA4: D1000001 00020701
	v_cndmask_b32_e64 v3, v2, v0, s[0:1]                       // 000000007CAC: D1000003 00020102
	ds_write2st64_b32 v5, v3, v8 offset1:8                     // 000000007CB4: D81E0800 00080305
	v_cndmask_b32_e64 v0, v0, v2, s[0:1]                       // 000000007CBC: D1000000 00020500
	ds_write2st64_b32 v7, v0, v1 offset1:8                     // 000000007CC4: D81E0800 00010007
	s_or_b64 exec, exec, s[4:5]                                // 000000007CCC: 87FE047E
	s_waitcnt lgkmcnt(0)                                       // 000000007CD0: BF8CC07F
	s_barrier                                                  // 000000007CD4: BF8A0000
	v_xor_b32_e32 v2, 2, v6                                    // 000000007CD8: 2A040C82
	v_cmp_gt_u32_e32 vcc, v2, v6                               // 000000007CDC: 7D980D02
	s_and_saveexec_b64 s[4:5], vcc                             // 000000007CE0: BE84206A
	s_cbranch_execz 29                                         // 000000007CE4: BF88001D <_ZN5aiter11PrefillTopKL10topKPerRowILi1024ELi2048ELi2048ELi512EEEvPvPKfPKiS6_PiPfii+0x615c>
	ds_read2st64_b32 v[0:1], v5 offset1:8                      // 000000007CE8: D8700800 00000005
	v_lshlrev_b32_e32 v7, 2, v2                                // 000000007CF0: 240E0482
	ds_read2st64_b32 v[2:3], v7 offset0:32 offset1:40          // 000000007CF4: D8702820 02000007
	v_or_b32_e32 v7, 0x2000, v7                                // 000000007CFC: 280E0EFF 00002000
	s_waitcnt lgkmcnt(0)                                       // 000000007D04: BF8CC07F
	v_cmp_ngt_f32_e32 vcc, v1, v3                              // 000000007D08: 7C960701
	s_mov_b64 s[0:1], -1                                       // 000000007D0C: BE8001C1
	s_and_saveexec_b64 s[10:11], vcc                           // 000000007D10: BE8A206A
	v_cmp_eq_f32_e32 vcc, v1, v3                               // 000000007D14: 7C840701
	v_cmp_gt_i32_e64 s[0:1], v0, v2                            // 000000007D18: D0C40000 00020500
	s_and_b64 s[0:1], vcc, s[0:1]                              // 000000007D20: 8680006A
	s_orn2_b64 s[0:1], s[0:1], exec                            // 000000007D24: 8A807E00
	s_or_b64 exec, exec, s[10:11]                              // 000000007D28: 87FE0A7E
	v_cndmask_b32_e64 v8, v3, v1, s[0:1]                       // 000000007D2C: D1000008 00020303
	v_cndmask_b32_e64 v1, v1, v3, s[0:1]                       // 000000007D34: D1000001 00020701
	v_cndmask_b32_e64 v3, v2, v0, s[0:1]                       // 000000007D3C: D1000003 00020102
	ds_write2st64_b32 v5, v3, v8 offset1:8                     // 000000007D44: D81E0800 00080305
	v_cndmask_b32_e64 v0, v0, v2, s[0:1]                       // 000000007D4C: D1000000 00020500
	ds_write2st64_b32 v7, v0, v1 offset1:8                     // 000000007D54: D81E0800 00010007
	s_or_b64 exec, exec, s[4:5]                                // 000000007D5C: 87FE047E
	s_waitcnt lgkmcnt(0)                                       // 000000007D60: BF8CC07F
	s_barrier                                                  // 000000007D64: BF8A0000
	v_xor_b32_e32 v2, 1, v6                                    // 000000007D68: 2A040C81
	v_cmp_gt_u32_e32 vcc, v2, v6                               // 000000007D6C: 7D980D02
	s_and_saveexec_b64 s[4:5], vcc                             // 000000007D70: BE84206A
	s_cbranch_execz 29                                         // 000000007D74: BF88001D <_ZN5aiter11PrefillTopKL10topKPerRowILi1024ELi2048ELi2048ELi512EEEvPvPKfPKiS6_PiPfii+0x61ec>
	ds_read2st64_b32 v[0:1], v5 offset1:8                      // 000000007D78: D8700800 00000005
	v_lshlrev_b32_e32 v7, 2, v2                                // 000000007D80: 240E0482
	ds_read2st64_b32 v[2:3], v7 offset0:32 offset1:40          // 000000007D84: D8702820 02000007
	v_or_b32_e32 v7, 0x2000, v7                                // 000000007D8C: 280E0EFF 00002000
	s_waitcnt lgkmcnt(0)                                       // 000000007D94: BF8CC07F
	v_cmp_ngt_f32_e32 vcc, v1, v3                              // 000000007D98: 7C960701
	s_mov_b64 s[0:1], -1                                       // 000000007D9C: BE8001C1
	s_and_saveexec_b64 s[10:11], vcc                           // 000000007DA0: BE8A206A
	v_cmp_eq_f32_e32 vcc, v1, v3                               // 000000007DA4: 7C840701
	v_cmp_gt_i32_e64 s[0:1], v0, v2                            // 000000007DA8: D0C40000 00020500
	s_and_b64 s[0:1], vcc, s[0:1]                              // 000000007DB0: 8680006A
	s_orn2_b64 s[0:1], s[0:1], exec                            // 000000007DB4: 8A807E00
	s_or_b64 exec, exec, s[10:11]                              // 000000007DB8: 87FE0A7E
	v_cndmask_b32_e64 v8, v3, v1, s[0:1]                       // 000000007DBC: D1000008 00020303
	v_cndmask_b32_e64 v1, v1, v3, s[0:1]                       // 000000007DC4: D1000001 00020701
	v_cndmask_b32_e64 v3, v2, v0, s[0:1]                       // 000000007DCC: D1000003 00020102
	ds_write2st64_b32 v5, v3, v8 offset1:8                     // 000000007DD4: D81E0800 00080305
	v_cndmask_b32_e64 v0, v0, v2, s[0:1]                       // 000000007DDC: D1000000 00020500
	ds_write2st64_b32 v7, v0, v1 offset1:8                     // 000000007DE4: D81E0800 00010007
	s_or_b64 exec, exec, s[4:5]                                // 000000007DEC: 87FE047E
	s_waitcnt lgkmcnt(0)                                       // 000000007DF0: BF8CC07F
	s_barrier                                                  // 000000007DF4: BF8A0000
	s_or_b64 s[26:27], s[26:27], exec                          // 000000007DF8: 879A7E1A
	s_or_b64 exec, exec, s[28:29]                              // 000000007DFC: 87FE1C7E
	s_and_saveexec_b64 s[0:1], s[26:27]                        // 000000007E00: BE80201A
	s_or_b64 exec, exec, s[0:1]                                // 000000007E04: 87FE007E
	s_mov_b64 vcc, exec                                        // 000000007E08: BEEA017E
	s_cbranch_execz 63398                                      // 000000007E0C: BF88F7A6 <_ZN5aiter11PrefillTopKL10topKPerRowILi1024ELi2048ELi2048ELi512EEEvPvPKfPKiS6_PiPfii+0x40a8>
	v_cmp_gt_i32_e32 vcc, s55, v6                              // 000000007E10: 7D880C37
	s_and_saveexec_b64 s[0:1], vcc                             // 000000007E14: BE80206A
	s_cbranch_execnz 65                                        // 000000007E18: BF890041 <_ZN5aiter11PrefillTopKL10topKPerRowILi1024ELi2048ELi2048ELi512EEEvPvPKfPKiS6_PiPfii+0x6320>
	s_branch 254                                               // 000000007E1C: BF8200FE <_ZN5aiter11PrefillTopKL10topKPerRowILi1024ELi2048ELi2048ELi512EEEvPvPKfPKiS6_PiPfii+0x6618>
	s_mov_b64 s[0:1], -1                                       // 000000007E20: BE8001C1
	s_and_b64 vcc, exec, s[0:1]                                // 000000007E24: 86EA007E
	s_cbranch_vccz 29                                          // 000000007E28: BF86001D <_ZN5aiter11PrefillTopKL10topKPerRowILi1024ELi2048ELi2048ELi512EEEvPvPKfPKiS6_PiPfii+0x62a0>
	s_lshl_b32 s0, s20, 2                                      // 000000007E2C: 8E008214
	s_add_i32 s14, s0, 0x2800                                  // 000000007E30: 810EFF00 00002800
	s_branch 5                                                 // 000000007E38: BF820005 <_ZN5aiter11PrefillTopKL10topKPerRowILi1024ELi2048ELi2048ELi512EEEvPvPKfPKiS6_PiPfii+0x6250>
	s_or_b64 exec, exec, s[0:1]                                // 000000007E3C: 87FE007E
	s_add_i32 s20, s20, 1                                      // 000000007E40: 81148114
	s_add_i32 s14, s14, 4                                      // 000000007E44: 810E840E
	s_cmp_eq_u32 s57, s20                                      // 000000007E48: BF061439
	s_cbranch_scc1 20                                          // 000000007E4C: BF850014 <_ZN5aiter11PrefillTopKL10topKPerRowILi1024ELi2048ELi2048ELi512EEEvPvPKfPKiS6_PiPfii+0x62a0>
	v_mov_b32_e32 v3, s14                                      // 000000007E50: 7E06020E
	ds_read_b32 v3, v3                                         // 000000007E54: D86C0000 03000003
	s_waitcnt lgkmcnt(0)                                       // 000000007E5C: BF8CC07F
	v_cmp_gt_f32_e64 s[4:5], v3, v1                            // 000000007E60: D0440004 00020303
	v_cmp_ngt_f32_e32 vcc, v3, v1                              // 000000007E68: 7C960303
	s_and_saveexec_b64 s[10:11], vcc                           // 000000007E6C: BE8A206A
	v_cmp_eq_f32_e32 vcc, v3, v1                               // 000000007E70: 7C840303
	v_cmp_lt_u32_e64 s[0:1], s20, v6                           // 000000007E74: D0C90000 00020C14
	s_and_b64 s[0:1], s[0:1], vcc                              // 000000007E7C: 86806A00
	s_andn2_b64 s[4:5], s[4:5], exec                           // 000000007E80: 89847E04
	s_and_b64 s[0:1], s[0:1], exec                             // 000000007E84: 86807E00
	s_or_b64 s[4:5], s[4:5], s[0:1]                            // 000000007E88: 87840004
	s_or_b64 exec, exec, s[10:11]                              // 000000007E8C: 87FE0A7E
	s_and_saveexec_b64 s[0:1], s[4:5]                          // 000000007E90: BE802004
	s_cbranch_execz 65513                                      // 000000007E94: BF88FFE9 <_ZN5aiter11PrefillTopKL10topKPerRowILi1024ELi2048ELi2048ELi512EEEvPvPKfPKiS6_PiPfii+0x623c>
	v_add_u32_e32 v2, 1, v2                                    // 000000007E98: 68040481
	s_branch 65511                                             // 000000007E9C: BF82FFE7 <_ZN5aiter11PrefillTopKL10topKPerRowILi1024ELi2048ELi2048ELi512EEEvPvPKfPKiS6_PiPfii+0x623c>
	v_add_lshl_u32 v2, v2, s57, 2                              // 000000007EA0: D1FE0002 02087302
	s_waitcnt lgkmcnt(0)                                       // 000000007EA8: BF8CC07F
	ds_write2st64_b32 v2, v0, v1 offset0:32 offset1:40         // 000000007EAC: D81E2820 00010002
	v_mov_b32_e32 v0, 0x2000                                   // 000000007EB4: 7E0002FF 00002000
	v_lshl_or_b32 v0, v6, 2, v0                                // 000000007EBC: D2000000 04010506
	s_lshl_b32 s4, s54, 2                                      // 000000007EC4: 8E048236
	v_lshl_add_u32 v1, s57, 2, v0                              // 000000007EC8: D1FD0001 04010439
	s_mov_b32 s5, 0                                            // 000000007ED0: BE850080
	s_mov_b64 s[0:1], 0                                        // 000000007ED4: BE800180
	v_mov_b32_e32 v2, v6                                       // 000000007ED8: 7E040306
	v_add_u32_e32 v3, s5, v1                                   // 000000007EDC: 68060205
	v_add_u32_e32 v5, s5, v0                                   // 000000007EE0: 680A0005
	ds_read2st64_b32 v[8:9], v3 offset1:8                      // 000000007EE4: D8700800 08000003
	v_add_u32_e32 v2, s54, v2                                  // 000000007EEC: 68040436
	s_add_i32 s5, s5, s4                                       // 000000007EF0: 81050405
	v_cmp_le_i32_e32 vcc, s57, v2                              // 000000007EF4: 7D860439
	s_or_b64 s[0:1], vcc, s[0:1]                               // 000000007EF8: 8780006A
	s_waitcnt lgkmcnt(0)                                       // 000000007EFC: BF8CC07F
	ds_write2st64_b32 v5, v8, v9 offset1:8                     // 000000007F00: D81E0800 00090805
	s_andn2_b64 exec, exec, s[0:1]                             // 000000007F08: 89FE007E
	s_cbranch_execnz 65523                                     // 000000007F0C: BF89FFF3 <_ZN5aiter11PrefillTopKL10topKPerRowILi1024ELi2048ELi2048ELi512EEEvPvPKfPKiS6_PiPfii+0x62dc>
	s_or_b64 exec, exec, s[18:19]                              // 000000007F10: 87FE127E
	v_cmp_gt_i32_e32 vcc, s55, v6                              // 000000007F14: 7D880C37
	s_and_saveexec_b64 s[0:1], vcc                             // 000000007F18: BE80206A
	s_cbranch_execz 190                                        // 000000007F1C: BF8800BE <_ZN5aiter11PrefillTopKL10topKPerRowILi1024ELi2048ELi2048ELi512EEEvPvPKfPKiS6_PiPfii+0x6618>
	s_add_i32 s20, s56, s34                                    // 000000007F20: 81142238
	v_xor_b32_e32 v0, 0x7ff, v6                                // 000000007F24: 2A000CFF 000007FF
	v_subrev_u32_e32 v1, s56, v0                               // 000000007F2C: 6C020038
	s_movk_i32 s4, 0x5400                                      // 000000007F30: B0045400
	v_cmp_gt_u32_e64 s[4:5], s4, v1                            // 000000007F34: D0CC0004 00020204
	s_movk_i32 s10, 0x53ff                                     // 000000007F3C: B00A53FF
	v_cmp_lt_u32_e32 vcc, s10, v1                              // 000000007F40: 7D92020A
	v_mov_b32_e32 v0, v6                                       // 000000007F44: 7E000306
	s_and_saveexec_b64 s[10:11], vcc                           // 000000007F48: BE8A206A
	s_cbranch_execz 153                                        // 000000007F4C: BF880099 <_ZN5aiter11PrefillTopKL10topKPerRowILi1024ELi2048ELi2048ELi512EEEvPvPKfPKiS6_PiPfii+0x65b4>
	v_and_b32_e32 v0, 0xfffffc00, v1                           // 000000007F50: 260002FF FFFFFC00
	v_add_u32_e32 v2, s20, v6                                  // 000000007F58: 68040C14
	v_add_u32_e32 v0, v2, v0                                   // 000000007F5C: 68000102
	v_cmp_ge_i32_e32 vcc, v0, v2                               // 000000007F60: 7D8C0500
	s_mov_b64 s[16:17], -1                                     // 000000007F64: BE9001C1
	v_mov_b32_e32 v0, v6                                       // 000000007F68: 7E000306
	s_and_saveexec_b64 s[14:15], vcc                           // 000000007F6C: BE8E206A
	s_cbranch_execz 140                                        // 000000007F70: BF88008C <_ZN5aiter11PrefillTopKL10topKPerRowILi1024ELi2048ELi2048ELi512EEEvPvPKfPKiS6_PiPfii+0x65a4>
	v_lshrrev_b32_e32 v2, 10, v1                               // 000000007F74: 2004028A
	v_or_b32_e32 v7, 0x400, v6                                 // 000000007F78: 280E0CFF 00000400
	v_add_u32_e32 v0, -1, v2                                   // 000000007F80: 680004C1
	v_lshrrev_b32_e32 v1, 1, v0                                // 000000007F84: 20020081
	v_add_u32_e32 v3, 1, v1                                    // 000000007F88: 68060281
	v_cmp_lt_u32_e32 vcc, 5, v0                                // 000000007F8C: 7D920085
	v_mov_b32_e32 v8, 0                                        // 000000007F90: 7E100280
	v_mov_b64_e32 v[0:1], v[6:7]                               // 000000007F94: 7E007106
	s_and_saveexec_b64 s[16:17], vcc                           // 000000007F98: BE90206A
	s_cbranch_execz 85                                         // 000000007F9C: BF880055 <_ZN5aiter11PrefillTopKL10topKPerRowILi1024ELi2048ELi2048ELi512EEEvPvPKfPKiS6_PiPfii+0x64f4>
	v_and_b32_e32 v5, -4, v3                                   // 000000007FA0: 260A06C4
	s_mov_b32 s21, 0                                           // 000000007FA4: BE950080
	s_mov_b64 s[18:19], 0                                      // 000000007FA8: BE920180
	v_mov_b64_e32 v[0:1], v[6:7]                               // 000000007FAC: 7E007106
	s_mov_b32 s22, 0                                           // 000000007FB0: BE960080
	v_lshl_or_b32 v7, s21, 12, v18                             // 000000007FB4: D2000007 04491815
	v_add_u32_e32 v10, s20, v0                                 // 000000007FBC: 68140014
	v_add_u32_e32 v12, s20, v1                                 // 000000007FC0: 68180214
	s_add_i32 s21, s21, 8                                      // 000000007FC4: 81158815
	v_add_u32_e32 v1, 0x2000, v1                               // 000000007FC8: 680202FF 00002000
	v_add_u32_e32 v0, 0x2000, v0                               // 000000007FD0: 680000FF 00002000
	s_add_i32 s22, s22, 4                                      // 000000007FD8: 81168416
	ds_read2st64_b32 v[14:15], v7 offset0:32 offset1:48        // 000000007FDC: D8703020 0E000007
	v_ashrrev_i32_e32 v13, 31, v12                             // 000000007FE4: 221A189F
	v_ashrrev_i32_e32 v11, 31, v10                             // 000000007FE8: 2216149F
	ds_read2st64_b32 v[16:17], v7 offset0:64 offset1:80        // 000000007FEC: D8705040 10000007
	v_add_u32_e32 v20, 0x800, v10                              // 000000007FF4: 682814FF 00000800
	v_add_u32_e32 v22, 0x800, v12                              // 000000007FFC: 682C18FF 00000800
	ds_read2st64_b32 v[24:25], v7 offset0:96 offset1:112       // 000000008004: D8707060 18000007
	v_add_u32_e32 v26, 0x1000, v10                             // 00000000800C: 683414FF 00001000
	v_add_u32_e32 v28, 0x1000, v12                             // 000000008014: 683818FF 00001000
	ds_read2st64_b32 v[30:31], v7 offset0:128 offset1:144      // 00000000801C: D8709080 1E000007
	v_add_u32_e32 v32, 0x1800, v10                             // 000000008024: 684014FF 00001800
	v_add_u32_e32 v34, 0x1800, v12                             // 00000000802C: 684418FF 00001800
	v_cmp_eq_u32_e32 vcc, s22, v5                              // 000000008034: 7D940A16
	v_mov_b32_e32 v8, s21                                      // 000000008038: 7E100215
	v_lshl_add_u64 v[10:11], v[10:11], 2, s[12:13]             // 00000000803C: D208000A 0031050A
	v_lshl_add_u64 v[12:13], v[12:13], 2, s[12:13]             // 000000008044: D208000C 0031050C
	v_ashrrev_i32_e32 v23, 31, v22                             // 00000000804C: 222E2C9F
	v_ashrrev_i32_e32 v21, 31, v20                             // 000000008050: 222A289F
	v_ashrrev_i32_e32 v29, 31, v28                             // 000000008054: 223A389F
	v_ashrrev_i32_e32 v27, 31, v26                             // 000000008058: 2236349F
	v_ashrrev_i32_e32 v35, 31, v34                             // 00000000805C: 2246449F
	v_ashrrev_i32_e32 v33, 31, v32                             // 000000008060: 2242409F
	s_or_b64 s[18:19], vcc, s[18:19]                           // 000000008064: 8792126A
	v_lshl_add_u64 v[20:21], v[20:21], 2, s[12:13]             // 000000008068: D2080014 00310514
	v_lshl_add_u64 v[22:23], v[22:23], 2, s[12:13]             // 000000008070: D2080016 00310516
	v_lshl_add_u64 v[26:27], v[26:27], 2, s[12:13]             // 000000008078: D208001A 0031051A
	v_lshl_add_u64 v[28:29], v[28:29], 2, s[12:13]             // 000000008080: D208001C 0031051C
	v_lshl_add_u64 v[32:33], v[32:33], 2, s[12:13]             // 000000008088: D2080020 00310520
	v_lshl_add_u64 v[34:35], v[34:35], 2, s[12:13]             // 000000008090: D2080022 00310522
	s_waitcnt lgkmcnt(3)                                       // 000000008098: BF8CC37F
	global_store_dword v[10:11], v14, off                      // 00000000809C: DC708000 007F0E0A
	global_store_dword v[12:13], v15, off                      // 0000000080A4: DC708000 007F0F0C
	s_waitcnt lgkmcnt(2)                                       // 0000000080AC: BF8CC27F
	global_store_dword v[20:21], v16, off                      // 0000000080B0: DC708000 007F1014
	global_store_dword v[22:23], v17, off                      // 0000000080B8: DC708000 007F1116
	s_waitcnt lgkmcnt(1)                                       // 0000000080C0: BF8CC17F
	global_store_dword v[26:27], v24, off                      // 0000000080C4: DC708000 007F181A
	global_store_dword v[28:29], v25, off                      // 0000000080CC: DC708000 007F191C
	s_waitcnt lgkmcnt(0)                                       // 0000000080D4: BF8CC07F
	global_store_dword v[32:33], v30, off                      // 0000000080D8: DC708000 007F1E20
	global_store_dword v[34:35], v31, off                      // 0000000080E0: DC708000 007F1F22
	s_andn2_b64 exec, exec, s[18:19]                           // 0000000080E8: 89FE127E
	s_cbranch_execnz 65457                                     // 0000000080EC: BF89FFB1 <_ZN5aiter11PrefillTopKL10topKPerRowILi1024ELi2048ELi2048ELi512EEEvPvPKfPKiS6_PiPfii+0x63b4>
	s_or_b64 exec, exec, s[18:19]                              // 0000000080F0: 87FE127E
	s_or_b64 exec, exec, s[16:17]                              // 0000000080F4: 87FE107E
	v_and_b32_e32 v3, 3, v3                                    // 0000000080F8: 26060683
	v_cmp_ne_u32_e32 vcc, 0, v3                                // 0000000080FC: 7D9A0680
	s_and_saveexec_b64 s[16:17], vcc                           // 000000008100: BE90206A
	s_cbranch_execz 31                                         // 000000008104: BF88001F <_ZN5aiter11PrefillTopKL10topKPerRowILi1024ELi2048ELi2048ELi512EEEvPvPKfPKiS6_PiPfii+0x6584>
	v_lshl_or_b32 v5, v8, 12, v18                              // 000000008108: D2000005 04491908
	v_add_u32_e32 v5, 0x2000, v5                               // 000000008110: 680A0AFF 00002000
	s_mov_b64 s[18:19], 0                                      // 000000008118: BE920180
	ds_read2st64_b32 v[8:9], v5 offset1:16                     // 00000000811C: D8701000 08000005
	v_add_u32_e32 v10, s20, v0                                 // 000000008124: 68140014
	v_add_u32_e32 v12, s20, v1                                 // 000000008128: 68180214
	v_add_u32_e32 v1, 0x800, v1                                // 00000000812C: 680202FF 00000800
	v_add_u32_e32 v0, 0x800, v0                                // 000000008134: 680000FF 00000800
	v_add_u32_e32 v5, 0x2000, v5                               // 00000000813C: 680A0AFF 00002000
	v_add_u32_e32 v3, -1, v3                                   // 000000008144: 680606C1
	v_ashrrev_i32_e32 v13, 31, v12                             // 000000008148: 221A189F
	v_ashrrev_i32_e32 v11, 31, v10                             // 00000000814C: 2216149F
	v_cmp_eq_u32_e32 vcc, 0, v3                                // 000000008150: 7D940680
	v_lshl_add_u64 v[10:11], v[10:11], 2, s[12:13]             // 000000008154: D208000A 0031050A
	v_lshl_add_u64 v[12:13], v[12:13], 2, s[12:13]             // 00000000815C: D208000C 0031050C
	s_or_b64 s[18:19], vcc, s[18:19]                           // 000000008164: 8792126A
	s_waitcnt lgkmcnt(0)                                       // 000000008168: BF8CC07F
	global_store_dword v[10:11], v8, off                       // 00000000816C: DC708000 007F080A
	global_store_dword v[12:13], v9, off                       // 000000008174: DC708000 007F090C
	s_andn2_b64 exec, exec, s[18:19]                           // 00000000817C: 89FE127E
	s_cbranch_execnz 65510                                     // 000000008180: BF89FFE6 <_ZN5aiter11PrefillTopKL10topKPerRowILi1024ELi2048ELi2048ELi512EEEvPvPKfPKiS6_PiPfii+0x651c>
	s_or_b64 exec, exec, s[16:17]                              // 000000008184: 87FE107E
	v_add_u32_e32 v1, 1, v2                                    // 000000008188: 68020481
	v_and_b32_e32 v2, 0x7ffffe, v1                             // 00000000818C: 260402FF 007FFFFE
	v_lshl_or_b32 v0, v2, 10, v6                               // 000000008194: D2000000 04191502
	v_cmp_ne_u32_e32 vcc, v1, v2                               // 00000000819C: 7D9A0501
	s_orn2_b64 s[16:17], vcc, exec                             // 0000000081A0: 8A907E6A
	s_or_b64 exec, exec, s[14:15]                              // 0000000081A4: 87FE0E7E
	s_andn2_b64 s[4:5], s[4:5], exec                           // 0000000081A8: 89847E04
	s_and_b64 s[14:15], s[16:17], exec                         // 0000000081AC: 868E7E10
	s_or_b64 s[4:5], s[4:5], s[14:15]                          // 0000000081B0: 87840E04
	s_or_b64 exec, exec, s[10:11]                              // 0000000081B4: 87FE0A7E
	s_and_b64 exec, exec, s[4:5]                               // 0000000081B8: 86FE047E
	s_cbranch_execz 22                                         // 0000000081BC: BF880016 <_ZN5aiter11PrefillTopKL10topKPerRowILi1024ELi2048ELi2048ELi512EEEvPvPKfPKiS6_PiPfii+0x6618>
	v_mov_b32_e32 v1, 0x2000                                   // 0000000081C0: 7E0202FF 00002000
	v_lshl_add_u32 v1, v0, 2, v1                               // 0000000081C8: D1FD0001 04050500
	s_mov_b64 s[4:5], 0                                        // 0000000081D0: BE840180
	ds_read_b32 v5, v1                                         // 0000000081D4: D86C0000 05000001
	v_add_u32_e32 v2, s20, v0                                  // 0000000081DC: 68040014
	v_add_u32_e32 v0, 0x400, v0                                // 0000000081E0: 680000FF 00000400
	v_add_u32_e32 v1, 0x1000, v1                               // 0000000081E8: 680202FF 00001000
	v_ashrrev_i32_e32 v3, 31, v2                               // 0000000081F0: 2206049F
	v_cmp_le_i32_e32 vcc, s55, v0                              // 0000000081F4: 7D860037
	v_lshl_add_u64 v[2:3], v[2:3], 2, s[12:13]                 // 0000000081F8: D2080002 00310502
	s_or_b64 s[4:5], vcc, s[4:5]                               // 000000008200: 8784046A
	s_waitcnt lgkmcnt(0)                                       // 000000008204: BF8CC07F
	global_store_dword v[2:3], v5, off                         // 000000008208: DC708000 007F0502
	s_andn2_b64 exec, exec, s[4:5]                             // 000000008210: 89FE047E
	s_cbranch_execnz 65519                                     // 000000008214: BF89FFEF <_ZN5aiter11PrefillTopKL10topKPerRowILi1024ELi2048ELi2048ELi512EEEvPvPKfPKiS6_PiPfii+0x65d4>
	s_or_b64 exec, exec, s[0:1]                                // 000000008218: 87FE007E
	s_mov_b64 vcc, exec                                        // 00000000821C: BEEA017E
	s_cbranch_execz 61132                                      // 000000008220: BF88EECC <_ZN5aiter11PrefillTopKL10topKPerRowILi1024ELi2048ELi2048ELi512EEEvPvPKfPKiS6_PiPfii+0x2154>
	s_branch 61326                                             // 000000008224: BF82EF8E <_ZN5aiter11PrefillTopKL10topKPerRowILi1024ELi2048ELi2048ELi512EEEvPvPKfPKiS6_PiPfii+0x2460>
